;; amdgpu-corpus repo=ROCm/composable_kernel kind=compiled arch=gfx1100 opt=O3
	.text
	.amdgcn_target "amdgcn-amd-amdhsa--gfx1100"
	.amdhsa_code_object_version 6
	.section	.text._ZN2ckL12flush_icacheEv,"axG",@progbits,_ZN2ckL12flush_icacheEv,comdat
	.globl	_ZN2ckL12flush_icacheEv         ; -- Begin function _ZN2ckL12flush_icacheEv
	.p2align	8
	.type	_ZN2ckL12flush_icacheEv,@function
_ZN2ckL12flush_icacheEv:                ; @_ZN2ckL12flush_icacheEv
; %bb.0:
	;;#ASMSTART
	s_icache_inv 
	s_nop 0 
	s_nop 0 
	;; [unrolled: 1-line block ×16, first 2 shown]
	
	;;#ASMEND
	s_endpgm
	.section	.rodata,"a",@progbits
	.p2align	6, 0x0
	.amdhsa_kernel _ZN2ckL12flush_icacheEv
		.amdhsa_group_segment_fixed_size 0
		.amdhsa_private_segment_fixed_size 0
		.amdhsa_kernarg_size 0
		.amdhsa_user_sgpr_count 15
		.amdhsa_user_sgpr_dispatch_ptr 0
		.amdhsa_user_sgpr_queue_ptr 0
		.amdhsa_user_sgpr_kernarg_segment_ptr 0
		.amdhsa_user_sgpr_dispatch_id 0
		.amdhsa_user_sgpr_private_segment_size 0
		.amdhsa_wavefront_size32 1
		.amdhsa_uses_dynamic_stack 0
		.amdhsa_enable_private_segment 0
		.amdhsa_system_sgpr_workgroup_id_x 1
		.amdhsa_system_sgpr_workgroup_id_y 0
		.amdhsa_system_sgpr_workgroup_id_z 0
		.amdhsa_system_sgpr_workgroup_info 0
		.amdhsa_system_vgpr_workitem_id 0
		.amdhsa_next_free_vgpr 1
		.amdhsa_next_free_sgpr 1
		.amdhsa_reserve_vcc 0
		.amdhsa_float_round_mode_32 0
		.amdhsa_float_round_mode_16_64 0
		.amdhsa_float_denorm_mode_32 3
		.amdhsa_float_denorm_mode_16_64 3
		.amdhsa_dx10_clamp 1
		.amdhsa_ieee_mode 1
		.amdhsa_fp16_overflow 0
		.amdhsa_workgroup_processor_mode 1
		.amdhsa_memory_ordered 1
		.amdhsa_forward_progress 0
		.amdhsa_shared_vgpr_count 0
		.amdhsa_exception_fp_ieee_invalid_op 0
		.amdhsa_exception_fp_denorm_src 0
		.amdhsa_exception_fp_ieee_div_zero 0
		.amdhsa_exception_fp_ieee_overflow 0
		.amdhsa_exception_fp_ieee_underflow 0
		.amdhsa_exception_fp_ieee_inexact 0
		.amdhsa_exception_int_div_zero 0
	.end_amdhsa_kernel
	.section	.text._ZN2ckL12flush_icacheEv,"axG",@progbits,_ZN2ckL12flush_icacheEv,comdat
.Lfunc_end0:
	.size	_ZN2ckL12flush_icacheEv, .Lfunc_end0-_ZN2ckL12flush_icacheEv
                                        ; -- End function
	.section	.AMDGPU.csdata,"",@progbits
; Kernel info:
; codeLenInByte = 344
; NumSgprs: 0
; NumVgprs: 0
; ScratchSize: 0
; MemoryBound: 0
; FloatMode: 240
; IeeeMode: 1
; LDSByteSize: 0 bytes/workgroup (compile time only)
; SGPRBlocks: 0
; VGPRBlocks: 0
; NumSGPRsForWavesPerEU: 1
; NumVGPRsForWavesPerEU: 1
; Occupancy: 16
; WaveLimiterHint : 0
; COMPUTE_PGM_RSRC2:SCRATCH_EN: 0
; COMPUTE_PGM_RSRC2:USER_SGPR: 15
; COMPUTE_PGM_RSRC2:TRAP_HANDLER: 0
; COMPUTE_PGM_RSRC2:TGID_X_EN: 1
; COMPUTE_PGM_RSRC2:TGID_Y_EN: 0
; COMPUTE_PGM_RSRC2:TGID_Z_EN: 0
; COMPUTE_PGM_RSRC2:TIDIG_COMP_CNT: 0
	.section	.text._ZN2ck27kernel_gemm_xdl_cshuffle_v3INS_28GridwiseGemm_xdl_cshuffle_v3INS_13tensor_layout4gemm8RowMajorENS3_11ColumnMajorES4_tNS_7pk_i4_tEfttNS_16tensor_operation12element_wise11PassThroughES9_S9_LNS7_6device18GemmSpecializationE0ELi128ELi16ELi64ELi128ELi8ELi32ELi16ELi16ELi1ELi2ENS_8SequenceIJLi16ELi8ELi1EEEENSC_IJLi1ELi0ELi2EEEESE_Li2ELi8ELi8ELb0ELi0ENSC_IJLi4ELi32ELi1EEEESE_SE_Li2ELi32ELi32ELb0ELi0ELi1ELi1ENSC_IJLi1ELi16ELi1ELi8EEEELi4ELNS_26BlockGemmPipelineSchedulerE1ELNS_24BlockGemmPipelineVersionE1EttLb0ELb1ELb0ELi0ELb0EEELb1ELNS_25InMemoryDataOperationEnumE1ELi2ELNS_10TailNumberE2EEEvNT_8ArgumentE,"axG",@progbits,_ZN2ck27kernel_gemm_xdl_cshuffle_v3INS_28GridwiseGemm_xdl_cshuffle_v3INS_13tensor_layout4gemm8RowMajorENS3_11ColumnMajorES4_tNS_7pk_i4_tEfttNS_16tensor_operation12element_wise11PassThroughES9_S9_LNS7_6device18GemmSpecializationE0ELi128ELi16ELi64ELi128ELi8ELi32ELi16ELi16ELi1ELi2ENS_8SequenceIJLi16ELi8ELi1EEEENSC_IJLi1ELi0ELi2EEEESE_Li2ELi8ELi8ELb0ELi0ENSC_IJLi4ELi32ELi1EEEESE_SE_Li2ELi32ELi32ELb0ELi0ELi1ELi1ENSC_IJLi1ELi16ELi1ELi8EEEELi4ELNS_26BlockGemmPipelineSchedulerE1ELNS_24BlockGemmPipelineVersionE1EttLb0ELb1ELb0ELi0ELb0EEELb1ELNS_25InMemoryDataOperationEnumE1ELi2ELNS_10TailNumberE2EEEvNT_8ArgumentE,comdat
	.protected	_ZN2ck27kernel_gemm_xdl_cshuffle_v3INS_28GridwiseGemm_xdl_cshuffle_v3INS_13tensor_layout4gemm8RowMajorENS3_11ColumnMajorES4_tNS_7pk_i4_tEfttNS_16tensor_operation12element_wise11PassThroughES9_S9_LNS7_6device18GemmSpecializationE0ELi128ELi16ELi64ELi128ELi8ELi32ELi16ELi16ELi1ELi2ENS_8SequenceIJLi16ELi8ELi1EEEENSC_IJLi1ELi0ELi2EEEESE_Li2ELi8ELi8ELb0ELi0ENSC_IJLi4ELi32ELi1EEEESE_SE_Li2ELi32ELi32ELb0ELi0ELi1ELi1ENSC_IJLi1ELi16ELi1ELi8EEEELi4ELNS_26BlockGemmPipelineSchedulerE1ELNS_24BlockGemmPipelineVersionE1EttLb0ELb1ELb0ELi0ELb0EEELb1ELNS_25InMemoryDataOperationEnumE1ELi2ELNS_10TailNumberE2EEEvNT_8ArgumentE ; -- Begin function _ZN2ck27kernel_gemm_xdl_cshuffle_v3INS_28GridwiseGemm_xdl_cshuffle_v3INS_13tensor_layout4gemm8RowMajorENS3_11ColumnMajorES4_tNS_7pk_i4_tEfttNS_16tensor_operation12element_wise11PassThroughES9_S9_LNS7_6device18GemmSpecializationE0ELi128ELi16ELi64ELi128ELi8ELi32ELi16ELi16ELi1ELi2ENS_8SequenceIJLi16ELi8ELi1EEEENSC_IJLi1ELi0ELi2EEEESE_Li2ELi8ELi8ELb0ELi0ENSC_IJLi4ELi32ELi1EEEESE_SE_Li2ELi32ELi32ELb0ELi0ELi1ELi1ENSC_IJLi1ELi16ELi1ELi8EEEELi4ELNS_26BlockGemmPipelineSchedulerE1ELNS_24BlockGemmPipelineVersionE1EttLb0ELb1ELb0ELi0ELb0EEELb1ELNS_25InMemoryDataOperationEnumE1ELi2ELNS_10TailNumberE2EEEvNT_8ArgumentE
	.globl	_ZN2ck27kernel_gemm_xdl_cshuffle_v3INS_28GridwiseGemm_xdl_cshuffle_v3INS_13tensor_layout4gemm8RowMajorENS3_11ColumnMajorES4_tNS_7pk_i4_tEfttNS_16tensor_operation12element_wise11PassThroughES9_S9_LNS7_6device18GemmSpecializationE0ELi128ELi16ELi64ELi128ELi8ELi32ELi16ELi16ELi1ELi2ENS_8SequenceIJLi16ELi8ELi1EEEENSC_IJLi1ELi0ELi2EEEESE_Li2ELi8ELi8ELb0ELi0ENSC_IJLi4ELi32ELi1EEEESE_SE_Li2ELi32ELi32ELb0ELi0ELi1ELi1ENSC_IJLi1ELi16ELi1ELi8EEEELi4ELNS_26BlockGemmPipelineSchedulerE1ELNS_24BlockGemmPipelineVersionE1EttLb0ELb1ELb0ELi0ELb0EEELb1ELNS_25InMemoryDataOperationEnumE1ELi2ELNS_10TailNumberE2EEEvNT_8ArgumentE
	.p2align	8
	.type	_ZN2ck27kernel_gemm_xdl_cshuffle_v3INS_28GridwiseGemm_xdl_cshuffle_v3INS_13tensor_layout4gemm8RowMajorENS3_11ColumnMajorES4_tNS_7pk_i4_tEfttNS_16tensor_operation12element_wise11PassThroughES9_S9_LNS7_6device18GemmSpecializationE0ELi128ELi16ELi64ELi128ELi8ELi32ELi16ELi16ELi1ELi2ENS_8SequenceIJLi16ELi8ELi1EEEENSC_IJLi1ELi0ELi2EEEESE_Li2ELi8ELi8ELb0ELi0ENSC_IJLi4ELi32ELi1EEEESE_SE_Li2ELi32ELi32ELb0ELi0ELi1ELi1ENSC_IJLi1ELi16ELi1ELi8EEEELi4ELNS_26BlockGemmPipelineSchedulerE1ELNS_24BlockGemmPipelineVersionE1EttLb0ELb1ELb0ELi0ELb0EEELb1ELNS_25InMemoryDataOperationEnumE1ELi2ELNS_10TailNumberE2EEEvNT_8ArgumentE,@function
_ZN2ck27kernel_gemm_xdl_cshuffle_v3INS_28GridwiseGemm_xdl_cshuffle_v3INS_13tensor_layout4gemm8RowMajorENS3_11ColumnMajorES4_tNS_7pk_i4_tEfttNS_16tensor_operation12element_wise11PassThroughES9_S9_LNS7_6device18GemmSpecializationE0ELi128ELi16ELi64ELi128ELi8ELi32ELi16ELi16ELi1ELi2ENS_8SequenceIJLi16ELi8ELi1EEEENSC_IJLi1ELi0ELi2EEEESE_Li2ELi8ELi8ELb0ELi0ENSC_IJLi4ELi32ELi1EEEESE_SE_Li2ELi32ELi32ELb0ELi0ELi1ELi1ENSC_IJLi1ELi16ELi1ELi8EEEELi4ELNS_26BlockGemmPipelineSchedulerE1ELNS_24BlockGemmPipelineVersionE1EttLb0ELb1ELb0ELi0ELb0EEELb1ELNS_25InMemoryDataOperationEnumE1ELi2ELNS_10TailNumberE2EEEvNT_8ArgumentE: ; @_ZN2ck27kernel_gemm_xdl_cshuffle_v3INS_28GridwiseGemm_xdl_cshuffle_v3INS_13tensor_layout4gemm8RowMajorENS3_11ColumnMajorES4_tNS_7pk_i4_tEfttNS_16tensor_operation12element_wise11PassThroughES9_S9_LNS7_6device18GemmSpecializationE0ELi128ELi16ELi64ELi128ELi8ELi32ELi16ELi16ELi1ELi2ENS_8SequenceIJLi16ELi8ELi1EEEENSC_IJLi1ELi0ELi2EEEESE_Li2ELi8ELi8ELb0ELi0ENSC_IJLi4ELi32ELi1EEEESE_SE_Li2ELi32ELi32ELb0ELi0ELi1ELi1ENSC_IJLi1ELi16ELi1ELi8EEEELi4ELNS_26BlockGemmPipelineSchedulerE1ELNS_24BlockGemmPipelineVersionE1EttLb0ELb1ELb0ELi0ELb0EEELb1ELNS_25InMemoryDataOperationEnumE1ELi2ELNS_10TailNumberE2EEEvNT_8ArgumentE
; %bb.0:
	s_endpgm
	.section	.rodata,"a",@progbits
	.p2align	6, 0x0
	.amdhsa_kernel _ZN2ck27kernel_gemm_xdl_cshuffle_v3INS_28GridwiseGemm_xdl_cshuffle_v3INS_13tensor_layout4gemm8RowMajorENS3_11ColumnMajorES4_tNS_7pk_i4_tEfttNS_16tensor_operation12element_wise11PassThroughES9_S9_LNS7_6device18GemmSpecializationE0ELi128ELi16ELi64ELi128ELi8ELi32ELi16ELi16ELi1ELi2ENS_8SequenceIJLi16ELi8ELi1EEEENSC_IJLi1ELi0ELi2EEEESE_Li2ELi8ELi8ELb0ELi0ENSC_IJLi4ELi32ELi1EEEESE_SE_Li2ELi32ELi32ELb0ELi0ELi1ELi1ENSC_IJLi1ELi16ELi1ELi8EEEELi4ELNS_26BlockGemmPipelineSchedulerE1ELNS_24BlockGemmPipelineVersionE1EttLb0ELb1ELb0ELi0ELb0EEELb1ELNS_25InMemoryDataOperationEnumE1ELi2ELNS_10TailNumberE2EEEvNT_8ArgumentE
		.amdhsa_group_segment_fixed_size 0
		.amdhsa_private_segment_fixed_size 0
		.amdhsa_kernarg_size 112
		.amdhsa_user_sgpr_count 15
		.amdhsa_user_sgpr_dispatch_ptr 0
		.amdhsa_user_sgpr_queue_ptr 0
		.amdhsa_user_sgpr_kernarg_segment_ptr 1
		.amdhsa_user_sgpr_dispatch_id 0
		.amdhsa_user_sgpr_private_segment_size 0
		.amdhsa_wavefront_size32 1
		.amdhsa_uses_dynamic_stack 0
		.amdhsa_enable_private_segment 0
		.amdhsa_system_sgpr_workgroup_id_x 1
		.amdhsa_system_sgpr_workgroup_id_y 0
		.amdhsa_system_sgpr_workgroup_id_z 0
		.amdhsa_system_sgpr_workgroup_info 0
		.amdhsa_system_vgpr_workitem_id 0
		.amdhsa_next_free_vgpr 1
		.amdhsa_next_free_sgpr 1
		.amdhsa_reserve_vcc 0
		.amdhsa_float_round_mode_32 0
		.amdhsa_float_round_mode_16_64 0
		.amdhsa_float_denorm_mode_32 3
		.amdhsa_float_denorm_mode_16_64 3
		.amdhsa_dx10_clamp 1
		.amdhsa_ieee_mode 1
		.amdhsa_fp16_overflow 0
		.amdhsa_workgroup_processor_mode 1
		.amdhsa_memory_ordered 1
		.amdhsa_forward_progress 0
		.amdhsa_shared_vgpr_count 0
		.amdhsa_exception_fp_ieee_invalid_op 0
		.amdhsa_exception_fp_denorm_src 0
		.amdhsa_exception_fp_ieee_div_zero 0
		.amdhsa_exception_fp_ieee_overflow 0
		.amdhsa_exception_fp_ieee_underflow 0
		.amdhsa_exception_fp_ieee_inexact 0
		.amdhsa_exception_int_div_zero 0
	.end_amdhsa_kernel
	.section	.text._ZN2ck27kernel_gemm_xdl_cshuffle_v3INS_28GridwiseGemm_xdl_cshuffle_v3INS_13tensor_layout4gemm8RowMajorENS3_11ColumnMajorES4_tNS_7pk_i4_tEfttNS_16tensor_operation12element_wise11PassThroughES9_S9_LNS7_6device18GemmSpecializationE0ELi128ELi16ELi64ELi128ELi8ELi32ELi16ELi16ELi1ELi2ENS_8SequenceIJLi16ELi8ELi1EEEENSC_IJLi1ELi0ELi2EEEESE_Li2ELi8ELi8ELb0ELi0ENSC_IJLi4ELi32ELi1EEEESE_SE_Li2ELi32ELi32ELb0ELi0ELi1ELi1ENSC_IJLi1ELi16ELi1ELi8EEEELi4ELNS_26BlockGemmPipelineSchedulerE1ELNS_24BlockGemmPipelineVersionE1EttLb0ELb1ELb0ELi0ELb0EEELb1ELNS_25InMemoryDataOperationEnumE1ELi2ELNS_10TailNumberE2EEEvNT_8ArgumentE,"axG",@progbits,_ZN2ck27kernel_gemm_xdl_cshuffle_v3INS_28GridwiseGemm_xdl_cshuffle_v3INS_13tensor_layout4gemm8RowMajorENS3_11ColumnMajorES4_tNS_7pk_i4_tEfttNS_16tensor_operation12element_wise11PassThroughES9_S9_LNS7_6device18GemmSpecializationE0ELi128ELi16ELi64ELi128ELi8ELi32ELi16ELi16ELi1ELi2ENS_8SequenceIJLi16ELi8ELi1EEEENSC_IJLi1ELi0ELi2EEEESE_Li2ELi8ELi8ELb0ELi0ENSC_IJLi4ELi32ELi1EEEESE_SE_Li2ELi32ELi32ELb0ELi0ELi1ELi1ENSC_IJLi1ELi16ELi1ELi8EEEELi4ELNS_26BlockGemmPipelineSchedulerE1ELNS_24BlockGemmPipelineVersionE1EttLb0ELb1ELb0ELi0ELb0EEELb1ELNS_25InMemoryDataOperationEnumE1ELi2ELNS_10TailNumberE2EEEvNT_8ArgumentE,comdat
.Lfunc_end1:
	.size	_ZN2ck27kernel_gemm_xdl_cshuffle_v3INS_28GridwiseGemm_xdl_cshuffle_v3INS_13tensor_layout4gemm8RowMajorENS3_11ColumnMajorES4_tNS_7pk_i4_tEfttNS_16tensor_operation12element_wise11PassThroughES9_S9_LNS7_6device18GemmSpecializationE0ELi128ELi16ELi64ELi128ELi8ELi32ELi16ELi16ELi1ELi2ENS_8SequenceIJLi16ELi8ELi1EEEENSC_IJLi1ELi0ELi2EEEESE_Li2ELi8ELi8ELb0ELi0ENSC_IJLi4ELi32ELi1EEEESE_SE_Li2ELi32ELi32ELb0ELi0ELi1ELi1ENSC_IJLi1ELi16ELi1ELi8EEEELi4ELNS_26BlockGemmPipelineSchedulerE1ELNS_24BlockGemmPipelineVersionE1EttLb0ELb1ELb0ELi0ELb0EEELb1ELNS_25InMemoryDataOperationEnumE1ELi2ELNS_10TailNumberE2EEEvNT_8ArgumentE, .Lfunc_end1-_ZN2ck27kernel_gemm_xdl_cshuffle_v3INS_28GridwiseGemm_xdl_cshuffle_v3INS_13tensor_layout4gemm8RowMajorENS3_11ColumnMajorES4_tNS_7pk_i4_tEfttNS_16tensor_operation12element_wise11PassThroughES9_S9_LNS7_6device18GemmSpecializationE0ELi128ELi16ELi64ELi128ELi8ELi32ELi16ELi16ELi1ELi2ENS_8SequenceIJLi16ELi8ELi1EEEENSC_IJLi1ELi0ELi2EEEESE_Li2ELi8ELi8ELb0ELi0ENSC_IJLi4ELi32ELi1EEEESE_SE_Li2ELi32ELi32ELb0ELi0ELi1ELi1ENSC_IJLi1ELi16ELi1ELi8EEEELi4ELNS_26BlockGemmPipelineSchedulerE1ELNS_24BlockGemmPipelineVersionE1EttLb0ELb1ELb0ELi0ELb0EEELb1ELNS_25InMemoryDataOperationEnumE1ELi2ELNS_10TailNumberE2EEEvNT_8ArgumentE
                                        ; -- End function
	.section	.AMDGPU.csdata,"",@progbits
; Kernel info:
; codeLenInByte = 4
; NumSgprs: 0
; NumVgprs: 0
; ScratchSize: 0
; MemoryBound: 0
; FloatMode: 240
; IeeeMode: 1
; LDSByteSize: 0 bytes/workgroup (compile time only)
; SGPRBlocks: 0
; VGPRBlocks: 0
; NumSGPRsForWavesPerEU: 1
; NumVGPRsForWavesPerEU: 1
; Occupancy: 16
; WaveLimiterHint : 0
; COMPUTE_PGM_RSRC2:SCRATCH_EN: 0
; COMPUTE_PGM_RSRC2:USER_SGPR: 15
; COMPUTE_PGM_RSRC2:TRAP_HANDLER: 0
; COMPUTE_PGM_RSRC2:TGID_X_EN: 1
; COMPUTE_PGM_RSRC2:TGID_Y_EN: 0
; COMPUTE_PGM_RSRC2:TGID_Z_EN: 0
; COMPUTE_PGM_RSRC2:TIDIG_COMP_CNT: 0
	.section	.text._ZN2ck27kernel_gemm_xdl_cshuffle_v3INS_28GridwiseGemm_xdl_cshuffle_v3INS_13tensor_layout4gemm8RowMajorENS3_11ColumnMajorES4_tNS_7pk_i4_tEfttNS_16tensor_operation12element_wise11PassThroughES9_S9_LNS7_6device18GemmSpecializationE0ELi128ELi16ELi64ELi128ELi8ELi32ELi16ELi16ELi1ELi2ENS_8SequenceIJLi16ELi8ELi1EEEENSC_IJLi1ELi0ELi2EEEESE_Li2ELi8ELi8ELb0ELi0ENSC_IJLi4ELi32ELi1EEEESE_SE_Li2ELi32ELi32ELb0ELi0ELi1ELi1ENSC_IJLi1ELi16ELi1ELi8EEEELi4ELNS_26BlockGemmPipelineSchedulerE1ELNS_24BlockGemmPipelineVersionE1EttLb0ELb1ELb0ELi0ELb0EEELb1ELNS_25InMemoryDataOperationEnumE1ELi2ELNS_10TailNumberE10EEEvNT_8ArgumentE,"axG",@progbits,_ZN2ck27kernel_gemm_xdl_cshuffle_v3INS_28GridwiseGemm_xdl_cshuffle_v3INS_13tensor_layout4gemm8RowMajorENS3_11ColumnMajorES4_tNS_7pk_i4_tEfttNS_16tensor_operation12element_wise11PassThroughES9_S9_LNS7_6device18GemmSpecializationE0ELi128ELi16ELi64ELi128ELi8ELi32ELi16ELi16ELi1ELi2ENS_8SequenceIJLi16ELi8ELi1EEEENSC_IJLi1ELi0ELi2EEEESE_Li2ELi8ELi8ELb0ELi0ENSC_IJLi4ELi32ELi1EEEESE_SE_Li2ELi32ELi32ELb0ELi0ELi1ELi1ENSC_IJLi1ELi16ELi1ELi8EEEELi4ELNS_26BlockGemmPipelineSchedulerE1ELNS_24BlockGemmPipelineVersionE1EttLb0ELb1ELb0ELi0ELb0EEELb1ELNS_25InMemoryDataOperationEnumE1ELi2ELNS_10TailNumberE10EEEvNT_8ArgumentE,comdat
	.protected	_ZN2ck27kernel_gemm_xdl_cshuffle_v3INS_28GridwiseGemm_xdl_cshuffle_v3INS_13tensor_layout4gemm8RowMajorENS3_11ColumnMajorES4_tNS_7pk_i4_tEfttNS_16tensor_operation12element_wise11PassThroughES9_S9_LNS7_6device18GemmSpecializationE0ELi128ELi16ELi64ELi128ELi8ELi32ELi16ELi16ELi1ELi2ENS_8SequenceIJLi16ELi8ELi1EEEENSC_IJLi1ELi0ELi2EEEESE_Li2ELi8ELi8ELb0ELi0ENSC_IJLi4ELi32ELi1EEEESE_SE_Li2ELi32ELi32ELb0ELi0ELi1ELi1ENSC_IJLi1ELi16ELi1ELi8EEEELi4ELNS_26BlockGemmPipelineSchedulerE1ELNS_24BlockGemmPipelineVersionE1EttLb0ELb1ELb0ELi0ELb0EEELb1ELNS_25InMemoryDataOperationEnumE1ELi2ELNS_10TailNumberE10EEEvNT_8ArgumentE ; -- Begin function _ZN2ck27kernel_gemm_xdl_cshuffle_v3INS_28GridwiseGemm_xdl_cshuffle_v3INS_13tensor_layout4gemm8RowMajorENS3_11ColumnMajorES4_tNS_7pk_i4_tEfttNS_16tensor_operation12element_wise11PassThroughES9_S9_LNS7_6device18GemmSpecializationE0ELi128ELi16ELi64ELi128ELi8ELi32ELi16ELi16ELi1ELi2ENS_8SequenceIJLi16ELi8ELi1EEEENSC_IJLi1ELi0ELi2EEEESE_Li2ELi8ELi8ELb0ELi0ENSC_IJLi4ELi32ELi1EEEESE_SE_Li2ELi32ELi32ELb0ELi0ELi1ELi1ENSC_IJLi1ELi16ELi1ELi8EEEELi4ELNS_26BlockGemmPipelineSchedulerE1ELNS_24BlockGemmPipelineVersionE1EttLb0ELb1ELb0ELi0ELb0EEELb1ELNS_25InMemoryDataOperationEnumE1ELi2ELNS_10TailNumberE10EEEvNT_8ArgumentE
	.globl	_ZN2ck27kernel_gemm_xdl_cshuffle_v3INS_28GridwiseGemm_xdl_cshuffle_v3INS_13tensor_layout4gemm8RowMajorENS3_11ColumnMajorES4_tNS_7pk_i4_tEfttNS_16tensor_operation12element_wise11PassThroughES9_S9_LNS7_6device18GemmSpecializationE0ELi128ELi16ELi64ELi128ELi8ELi32ELi16ELi16ELi1ELi2ENS_8SequenceIJLi16ELi8ELi1EEEENSC_IJLi1ELi0ELi2EEEESE_Li2ELi8ELi8ELb0ELi0ENSC_IJLi4ELi32ELi1EEEESE_SE_Li2ELi32ELi32ELb0ELi0ELi1ELi1ENSC_IJLi1ELi16ELi1ELi8EEEELi4ELNS_26BlockGemmPipelineSchedulerE1ELNS_24BlockGemmPipelineVersionE1EttLb0ELb1ELb0ELi0ELb0EEELb1ELNS_25InMemoryDataOperationEnumE1ELi2ELNS_10TailNumberE10EEEvNT_8ArgumentE
	.p2align	8
	.type	_ZN2ck27kernel_gemm_xdl_cshuffle_v3INS_28GridwiseGemm_xdl_cshuffle_v3INS_13tensor_layout4gemm8RowMajorENS3_11ColumnMajorES4_tNS_7pk_i4_tEfttNS_16tensor_operation12element_wise11PassThroughES9_S9_LNS7_6device18GemmSpecializationE0ELi128ELi16ELi64ELi128ELi8ELi32ELi16ELi16ELi1ELi2ENS_8SequenceIJLi16ELi8ELi1EEEENSC_IJLi1ELi0ELi2EEEESE_Li2ELi8ELi8ELb0ELi0ENSC_IJLi4ELi32ELi1EEEESE_SE_Li2ELi32ELi32ELb0ELi0ELi1ELi1ENSC_IJLi1ELi16ELi1ELi8EEEELi4ELNS_26BlockGemmPipelineSchedulerE1ELNS_24BlockGemmPipelineVersionE1EttLb0ELb1ELb0ELi0ELb0EEELb1ELNS_25InMemoryDataOperationEnumE1ELi2ELNS_10TailNumberE10EEEvNT_8ArgumentE,@function
_ZN2ck27kernel_gemm_xdl_cshuffle_v3INS_28GridwiseGemm_xdl_cshuffle_v3INS_13tensor_layout4gemm8RowMajorENS3_11ColumnMajorES4_tNS_7pk_i4_tEfttNS_16tensor_operation12element_wise11PassThroughES9_S9_LNS7_6device18GemmSpecializationE0ELi128ELi16ELi64ELi128ELi8ELi32ELi16ELi16ELi1ELi2ENS_8SequenceIJLi16ELi8ELi1EEEENSC_IJLi1ELi0ELi2EEEESE_Li2ELi8ELi8ELb0ELi0ENSC_IJLi4ELi32ELi1EEEESE_SE_Li2ELi32ELi32ELb0ELi0ELi1ELi1ENSC_IJLi1ELi16ELi1ELi8EEEELi4ELNS_26BlockGemmPipelineSchedulerE1ELNS_24BlockGemmPipelineVersionE1EttLb0ELb1ELb0ELi0ELb0EEELb1ELNS_25InMemoryDataOperationEnumE1ELi2ELNS_10TailNumberE10EEEvNT_8ArgumentE: ; @_ZN2ck27kernel_gemm_xdl_cshuffle_v3INS_28GridwiseGemm_xdl_cshuffle_v3INS_13tensor_layout4gemm8RowMajorENS3_11ColumnMajorES4_tNS_7pk_i4_tEfttNS_16tensor_operation12element_wise11PassThroughES9_S9_LNS7_6device18GemmSpecializationE0ELi128ELi16ELi64ELi128ELi8ELi32ELi16ELi16ELi1ELi2ENS_8SequenceIJLi16ELi8ELi1EEEENSC_IJLi1ELi0ELi2EEEESE_Li2ELi8ELi8ELb0ELi0ENSC_IJLi4ELi32ELi1EEEESE_SE_Li2ELi32ELi32ELb0ELi0ELi1ELi1ENSC_IJLi1ELi16ELi1ELi8EEEELi4ELNS_26BlockGemmPipelineSchedulerE1ELNS_24BlockGemmPipelineVersionE1EttLb0ELb1ELb0ELi0ELb0EEELb1ELNS_25InMemoryDataOperationEnumE1ELi2ELNS_10TailNumberE10EEEvNT_8ArgumentE
; %bb.0:
	s_endpgm
	.section	.rodata,"a",@progbits
	.p2align	6, 0x0
	.amdhsa_kernel _ZN2ck27kernel_gemm_xdl_cshuffle_v3INS_28GridwiseGemm_xdl_cshuffle_v3INS_13tensor_layout4gemm8RowMajorENS3_11ColumnMajorES4_tNS_7pk_i4_tEfttNS_16tensor_operation12element_wise11PassThroughES9_S9_LNS7_6device18GemmSpecializationE0ELi128ELi16ELi64ELi128ELi8ELi32ELi16ELi16ELi1ELi2ENS_8SequenceIJLi16ELi8ELi1EEEENSC_IJLi1ELi0ELi2EEEESE_Li2ELi8ELi8ELb0ELi0ENSC_IJLi4ELi32ELi1EEEESE_SE_Li2ELi32ELi32ELb0ELi0ELi1ELi1ENSC_IJLi1ELi16ELi1ELi8EEEELi4ELNS_26BlockGemmPipelineSchedulerE1ELNS_24BlockGemmPipelineVersionE1EttLb0ELb1ELb0ELi0ELb0EEELb1ELNS_25InMemoryDataOperationEnumE1ELi2ELNS_10TailNumberE10EEEvNT_8ArgumentE
		.amdhsa_group_segment_fixed_size 0
		.amdhsa_private_segment_fixed_size 0
		.amdhsa_kernarg_size 112
		.amdhsa_user_sgpr_count 15
		.amdhsa_user_sgpr_dispatch_ptr 0
		.amdhsa_user_sgpr_queue_ptr 0
		.amdhsa_user_sgpr_kernarg_segment_ptr 1
		.amdhsa_user_sgpr_dispatch_id 0
		.amdhsa_user_sgpr_private_segment_size 0
		.amdhsa_wavefront_size32 1
		.amdhsa_uses_dynamic_stack 0
		.amdhsa_enable_private_segment 0
		.amdhsa_system_sgpr_workgroup_id_x 1
		.amdhsa_system_sgpr_workgroup_id_y 0
		.amdhsa_system_sgpr_workgroup_id_z 0
		.amdhsa_system_sgpr_workgroup_info 0
		.amdhsa_system_vgpr_workitem_id 0
		.amdhsa_next_free_vgpr 1
		.amdhsa_next_free_sgpr 1
		.amdhsa_reserve_vcc 0
		.amdhsa_float_round_mode_32 0
		.amdhsa_float_round_mode_16_64 0
		.amdhsa_float_denorm_mode_32 3
		.amdhsa_float_denorm_mode_16_64 3
		.amdhsa_dx10_clamp 1
		.amdhsa_ieee_mode 1
		.amdhsa_fp16_overflow 0
		.amdhsa_workgroup_processor_mode 1
		.amdhsa_memory_ordered 1
		.amdhsa_forward_progress 0
		.amdhsa_shared_vgpr_count 0
		.amdhsa_exception_fp_ieee_invalid_op 0
		.amdhsa_exception_fp_denorm_src 0
		.amdhsa_exception_fp_ieee_div_zero 0
		.amdhsa_exception_fp_ieee_overflow 0
		.amdhsa_exception_fp_ieee_underflow 0
		.amdhsa_exception_fp_ieee_inexact 0
		.amdhsa_exception_int_div_zero 0
	.end_amdhsa_kernel
	.section	.text._ZN2ck27kernel_gemm_xdl_cshuffle_v3INS_28GridwiseGemm_xdl_cshuffle_v3INS_13tensor_layout4gemm8RowMajorENS3_11ColumnMajorES4_tNS_7pk_i4_tEfttNS_16tensor_operation12element_wise11PassThroughES9_S9_LNS7_6device18GemmSpecializationE0ELi128ELi16ELi64ELi128ELi8ELi32ELi16ELi16ELi1ELi2ENS_8SequenceIJLi16ELi8ELi1EEEENSC_IJLi1ELi0ELi2EEEESE_Li2ELi8ELi8ELb0ELi0ENSC_IJLi4ELi32ELi1EEEESE_SE_Li2ELi32ELi32ELb0ELi0ELi1ELi1ENSC_IJLi1ELi16ELi1ELi8EEEELi4ELNS_26BlockGemmPipelineSchedulerE1ELNS_24BlockGemmPipelineVersionE1EttLb0ELb1ELb0ELi0ELb0EEELb1ELNS_25InMemoryDataOperationEnumE1ELi2ELNS_10TailNumberE10EEEvNT_8ArgumentE,"axG",@progbits,_ZN2ck27kernel_gemm_xdl_cshuffle_v3INS_28GridwiseGemm_xdl_cshuffle_v3INS_13tensor_layout4gemm8RowMajorENS3_11ColumnMajorES4_tNS_7pk_i4_tEfttNS_16tensor_operation12element_wise11PassThroughES9_S9_LNS7_6device18GemmSpecializationE0ELi128ELi16ELi64ELi128ELi8ELi32ELi16ELi16ELi1ELi2ENS_8SequenceIJLi16ELi8ELi1EEEENSC_IJLi1ELi0ELi2EEEESE_Li2ELi8ELi8ELb0ELi0ENSC_IJLi4ELi32ELi1EEEESE_SE_Li2ELi32ELi32ELb0ELi0ELi1ELi1ENSC_IJLi1ELi16ELi1ELi8EEEELi4ELNS_26BlockGemmPipelineSchedulerE1ELNS_24BlockGemmPipelineVersionE1EttLb0ELb1ELb0ELi0ELb0EEELb1ELNS_25InMemoryDataOperationEnumE1ELi2ELNS_10TailNumberE10EEEvNT_8ArgumentE,comdat
.Lfunc_end2:
	.size	_ZN2ck27kernel_gemm_xdl_cshuffle_v3INS_28GridwiseGemm_xdl_cshuffle_v3INS_13tensor_layout4gemm8RowMajorENS3_11ColumnMajorES4_tNS_7pk_i4_tEfttNS_16tensor_operation12element_wise11PassThroughES9_S9_LNS7_6device18GemmSpecializationE0ELi128ELi16ELi64ELi128ELi8ELi32ELi16ELi16ELi1ELi2ENS_8SequenceIJLi16ELi8ELi1EEEENSC_IJLi1ELi0ELi2EEEESE_Li2ELi8ELi8ELb0ELi0ENSC_IJLi4ELi32ELi1EEEESE_SE_Li2ELi32ELi32ELb0ELi0ELi1ELi1ENSC_IJLi1ELi16ELi1ELi8EEEELi4ELNS_26BlockGemmPipelineSchedulerE1ELNS_24BlockGemmPipelineVersionE1EttLb0ELb1ELb0ELi0ELb0EEELb1ELNS_25InMemoryDataOperationEnumE1ELi2ELNS_10TailNumberE10EEEvNT_8ArgumentE, .Lfunc_end2-_ZN2ck27kernel_gemm_xdl_cshuffle_v3INS_28GridwiseGemm_xdl_cshuffle_v3INS_13tensor_layout4gemm8RowMajorENS3_11ColumnMajorES4_tNS_7pk_i4_tEfttNS_16tensor_operation12element_wise11PassThroughES9_S9_LNS7_6device18GemmSpecializationE0ELi128ELi16ELi64ELi128ELi8ELi32ELi16ELi16ELi1ELi2ENS_8SequenceIJLi16ELi8ELi1EEEENSC_IJLi1ELi0ELi2EEEESE_Li2ELi8ELi8ELb0ELi0ENSC_IJLi4ELi32ELi1EEEESE_SE_Li2ELi32ELi32ELb0ELi0ELi1ELi1ENSC_IJLi1ELi16ELi1ELi8EEEELi4ELNS_26BlockGemmPipelineSchedulerE1ELNS_24BlockGemmPipelineVersionE1EttLb0ELb1ELb0ELi0ELb0EEELb1ELNS_25InMemoryDataOperationEnumE1ELi2ELNS_10TailNumberE10EEEvNT_8ArgumentE
                                        ; -- End function
	.section	.AMDGPU.csdata,"",@progbits
; Kernel info:
; codeLenInByte = 4
; NumSgprs: 0
; NumVgprs: 0
; ScratchSize: 0
; MemoryBound: 0
; FloatMode: 240
; IeeeMode: 1
; LDSByteSize: 0 bytes/workgroup (compile time only)
; SGPRBlocks: 0
; VGPRBlocks: 0
; NumSGPRsForWavesPerEU: 1
; NumVGPRsForWavesPerEU: 1
; Occupancy: 16
; WaveLimiterHint : 0
; COMPUTE_PGM_RSRC2:SCRATCH_EN: 0
; COMPUTE_PGM_RSRC2:USER_SGPR: 15
; COMPUTE_PGM_RSRC2:TRAP_HANDLER: 0
; COMPUTE_PGM_RSRC2:TGID_X_EN: 1
; COMPUTE_PGM_RSRC2:TGID_Y_EN: 0
; COMPUTE_PGM_RSRC2:TGID_Z_EN: 0
; COMPUTE_PGM_RSRC2:TIDIG_COMP_CNT: 0
	.section	.text._ZN2ck27kernel_gemm_xdl_cshuffle_v3INS_28GridwiseGemm_xdl_cshuffle_v3INS_13tensor_layout4gemm8RowMajorENS3_11ColumnMajorES4_tNS_7pk_i4_tEfttNS_16tensor_operation12element_wise11PassThroughES9_S9_LNS7_6device18GemmSpecializationE0ELi128ELi16ELi64ELi128ELi8ELi32ELi16ELi16ELi1ELi2ENS_8SequenceIJLi16ELi8ELi1EEEENSC_IJLi1ELi0ELi2EEEESE_Li2ELi8ELi8ELb0ELi0ENSC_IJLi4ELi32ELi1EEEESE_SE_Li2ELi32ELi32ELb0ELi0ELi1ELi1ENSC_IJLi1ELi16ELi1ELi8EEEELi4ELNS_26BlockGemmPipelineSchedulerE1ELNS_24BlockGemmPipelineVersionE1EttLb0ELb1ELb0ELi0ELb0EEELb1ELNS_25InMemoryDataOperationEnumE0ELi2ELNS_10TailNumberE2EEEvNT_8ArgumentE,"axG",@progbits,_ZN2ck27kernel_gemm_xdl_cshuffle_v3INS_28GridwiseGemm_xdl_cshuffle_v3INS_13tensor_layout4gemm8RowMajorENS3_11ColumnMajorES4_tNS_7pk_i4_tEfttNS_16tensor_operation12element_wise11PassThroughES9_S9_LNS7_6device18GemmSpecializationE0ELi128ELi16ELi64ELi128ELi8ELi32ELi16ELi16ELi1ELi2ENS_8SequenceIJLi16ELi8ELi1EEEENSC_IJLi1ELi0ELi2EEEESE_Li2ELi8ELi8ELb0ELi0ENSC_IJLi4ELi32ELi1EEEESE_SE_Li2ELi32ELi32ELb0ELi0ELi1ELi1ENSC_IJLi1ELi16ELi1ELi8EEEELi4ELNS_26BlockGemmPipelineSchedulerE1ELNS_24BlockGemmPipelineVersionE1EttLb0ELb1ELb0ELi0ELb0EEELb1ELNS_25InMemoryDataOperationEnumE0ELi2ELNS_10TailNumberE2EEEvNT_8ArgumentE,comdat
	.protected	_ZN2ck27kernel_gemm_xdl_cshuffle_v3INS_28GridwiseGemm_xdl_cshuffle_v3INS_13tensor_layout4gemm8RowMajorENS3_11ColumnMajorES4_tNS_7pk_i4_tEfttNS_16tensor_operation12element_wise11PassThroughES9_S9_LNS7_6device18GemmSpecializationE0ELi128ELi16ELi64ELi128ELi8ELi32ELi16ELi16ELi1ELi2ENS_8SequenceIJLi16ELi8ELi1EEEENSC_IJLi1ELi0ELi2EEEESE_Li2ELi8ELi8ELb0ELi0ENSC_IJLi4ELi32ELi1EEEESE_SE_Li2ELi32ELi32ELb0ELi0ELi1ELi1ENSC_IJLi1ELi16ELi1ELi8EEEELi4ELNS_26BlockGemmPipelineSchedulerE1ELNS_24BlockGemmPipelineVersionE1EttLb0ELb1ELb0ELi0ELb0EEELb1ELNS_25InMemoryDataOperationEnumE0ELi2ELNS_10TailNumberE2EEEvNT_8ArgumentE ; -- Begin function _ZN2ck27kernel_gemm_xdl_cshuffle_v3INS_28GridwiseGemm_xdl_cshuffle_v3INS_13tensor_layout4gemm8RowMajorENS3_11ColumnMajorES4_tNS_7pk_i4_tEfttNS_16tensor_operation12element_wise11PassThroughES9_S9_LNS7_6device18GemmSpecializationE0ELi128ELi16ELi64ELi128ELi8ELi32ELi16ELi16ELi1ELi2ENS_8SequenceIJLi16ELi8ELi1EEEENSC_IJLi1ELi0ELi2EEEESE_Li2ELi8ELi8ELb0ELi0ENSC_IJLi4ELi32ELi1EEEESE_SE_Li2ELi32ELi32ELb0ELi0ELi1ELi1ENSC_IJLi1ELi16ELi1ELi8EEEELi4ELNS_26BlockGemmPipelineSchedulerE1ELNS_24BlockGemmPipelineVersionE1EttLb0ELb1ELb0ELi0ELb0EEELb1ELNS_25InMemoryDataOperationEnumE0ELi2ELNS_10TailNumberE2EEEvNT_8ArgumentE
	.globl	_ZN2ck27kernel_gemm_xdl_cshuffle_v3INS_28GridwiseGemm_xdl_cshuffle_v3INS_13tensor_layout4gemm8RowMajorENS3_11ColumnMajorES4_tNS_7pk_i4_tEfttNS_16tensor_operation12element_wise11PassThroughES9_S9_LNS7_6device18GemmSpecializationE0ELi128ELi16ELi64ELi128ELi8ELi32ELi16ELi16ELi1ELi2ENS_8SequenceIJLi16ELi8ELi1EEEENSC_IJLi1ELi0ELi2EEEESE_Li2ELi8ELi8ELb0ELi0ENSC_IJLi4ELi32ELi1EEEESE_SE_Li2ELi32ELi32ELb0ELi0ELi1ELi1ENSC_IJLi1ELi16ELi1ELi8EEEELi4ELNS_26BlockGemmPipelineSchedulerE1ELNS_24BlockGemmPipelineVersionE1EttLb0ELb1ELb0ELi0ELb0EEELb1ELNS_25InMemoryDataOperationEnumE0ELi2ELNS_10TailNumberE2EEEvNT_8ArgumentE
	.p2align	8
	.type	_ZN2ck27kernel_gemm_xdl_cshuffle_v3INS_28GridwiseGemm_xdl_cshuffle_v3INS_13tensor_layout4gemm8RowMajorENS3_11ColumnMajorES4_tNS_7pk_i4_tEfttNS_16tensor_operation12element_wise11PassThroughES9_S9_LNS7_6device18GemmSpecializationE0ELi128ELi16ELi64ELi128ELi8ELi32ELi16ELi16ELi1ELi2ENS_8SequenceIJLi16ELi8ELi1EEEENSC_IJLi1ELi0ELi2EEEESE_Li2ELi8ELi8ELb0ELi0ENSC_IJLi4ELi32ELi1EEEESE_SE_Li2ELi32ELi32ELb0ELi0ELi1ELi1ENSC_IJLi1ELi16ELi1ELi8EEEELi4ELNS_26BlockGemmPipelineSchedulerE1ELNS_24BlockGemmPipelineVersionE1EttLb0ELb1ELb0ELi0ELb0EEELb1ELNS_25InMemoryDataOperationEnumE0ELi2ELNS_10TailNumberE2EEEvNT_8ArgumentE,@function
_ZN2ck27kernel_gemm_xdl_cshuffle_v3INS_28GridwiseGemm_xdl_cshuffle_v3INS_13tensor_layout4gemm8RowMajorENS3_11ColumnMajorES4_tNS_7pk_i4_tEfttNS_16tensor_operation12element_wise11PassThroughES9_S9_LNS7_6device18GemmSpecializationE0ELi128ELi16ELi64ELi128ELi8ELi32ELi16ELi16ELi1ELi2ENS_8SequenceIJLi16ELi8ELi1EEEENSC_IJLi1ELi0ELi2EEEESE_Li2ELi8ELi8ELb0ELi0ENSC_IJLi4ELi32ELi1EEEESE_SE_Li2ELi32ELi32ELb0ELi0ELi1ELi1ENSC_IJLi1ELi16ELi1ELi8EEEELi4ELNS_26BlockGemmPipelineSchedulerE1ELNS_24BlockGemmPipelineVersionE1EttLb0ELb1ELb0ELi0ELb0EEELb1ELNS_25InMemoryDataOperationEnumE0ELi2ELNS_10TailNumberE2EEEvNT_8ArgumentE: ; @_ZN2ck27kernel_gemm_xdl_cshuffle_v3INS_28GridwiseGemm_xdl_cshuffle_v3INS_13tensor_layout4gemm8RowMajorENS3_11ColumnMajorES4_tNS_7pk_i4_tEfttNS_16tensor_operation12element_wise11PassThroughES9_S9_LNS7_6device18GemmSpecializationE0ELi128ELi16ELi64ELi128ELi8ELi32ELi16ELi16ELi1ELi2ENS_8SequenceIJLi16ELi8ELi1EEEENSC_IJLi1ELi0ELi2EEEESE_Li2ELi8ELi8ELb0ELi0ENSC_IJLi4ELi32ELi1EEEESE_SE_Li2ELi32ELi32ELb0ELi0ELi1ELi1ENSC_IJLi1ELi16ELi1ELi8EEEELi4ELNS_26BlockGemmPipelineSchedulerE1ELNS_24BlockGemmPipelineVersionE1EttLb0ELb1ELb0ELi0ELb0EEELb1ELNS_25InMemoryDataOperationEnumE0ELi2ELNS_10TailNumberE2EEEvNT_8ArgumentE
; %bb.0:
	s_endpgm
	.section	.rodata,"a",@progbits
	.p2align	6, 0x0
	.amdhsa_kernel _ZN2ck27kernel_gemm_xdl_cshuffle_v3INS_28GridwiseGemm_xdl_cshuffle_v3INS_13tensor_layout4gemm8RowMajorENS3_11ColumnMajorES4_tNS_7pk_i4_tEfttNS_16tensor_operation12element_wise11PassThroughES9_S9_LNS7_6device18GemmSpecializationE0ELi128ELi16ELi64ELi128ELi8ELi32ELi16ELi16ELi1ELi2ENS_8SequenceIJLi16ELi8ELi1EEEENSC_IJLi1ELi0ELi2EEEESE_Li2ELi8ELi8ELb0ELi0ENSC_IJLi4ELi32ELi1EEEESE_SE_Li2ELi32ELi32ELb0ELi0ELi1ELi1ENSC_IJLi1ELi16ELi1ELi8EEEELi4ELNS_26BlockGemmPipelineSchedulerE1ELNS_24BlockGemmPipelineVersionE1EttLb0ELb1ELb0ELi0ELb0EEELb1ELNS_25InMemoryDataOperationEnumE0ELi2ELNS_10TailNumberE2EEEvNT_8ArgumentE
		.amdhsa_group_segment_fixed_size 0
		.amdhsa_private_segment_fixed_size 0
		.amdhsa_kernarg_size 112
		.amdhsa_user_sgpr_count 15
		.amdhsa_user_sgpr_dispatch_ptr 0
		.amdhsa_user_sgpr_queue_ptr 0
		.amdhsa_user_sgpr_kernarg_segment_ptr 1
		.amdhsa_user_sgpr_dispatch_id 0
		.amdhsa_user_sgpr_private_segment_size 0
		.amdhsa_wavefront_size32 1
		.amdhsa_uses_dynamic_stack 0
		.amdhsa_enable_private_segment 0
		.amdhsa_system_sgpr_workgroup_id_x 1
		.amdhsa_system_sgpr_workgroup_id_y 0
		.amdhsa_system_sgpr_workgroup_id_z 0
		.amdhsa_system_sgpr_workgroup_info 0
		.amdhsa_system_vgpr_workitem_id 0
		.amdhsa_next_free_vgpr 1
		.amdhsa_next_free_sgpr 1
		.amdhsa_reserve_vcc 0
		.amdhsa_float_round_mode_32 0
		.amdhsa_float_round_mode_16_64 0
		.amdhsa_float_denorm_mode_32 3
		.amdhsa_float_denorm_mode_16_64 3
		.amdhsa_dx10_clamp 1
		.amdhsa_ieee_mode 1
		.amdhsa_fp16_overflow 0
		.amdhsa_workgroup_processor_mode 1
		.amdhsa_memory_ordered 1
		.amdhsa_forward_progress 0
		.amdhsa_shared_vgpr_count 0
		.amdhsa_exception_fp_ieee_invalid_op 0
		.amdhsa_exception_fp_denorm_src 0
		.amdhsa_exception_fp_ieee_div_zero 0
		.amdhsa_exception_fp_ieee_overflow 0
		.amdhsa_exception_fp_ieee_underflow 0
		.amdhsa_exception_fp_ieee_inexact 0
		.amdhsa_exception_int_div_zero 0
	.end_amdhsa_kernel
	.section	.text._ZN2ck27kernel_gemm_xdl_cshuffle_v3INS_28GridwiseGemm_xdl_cshuffle_v3INS_13tensor_layout4gemm8RowMajorENS3_11ColumnMajorES4_tNS_7pk_i4_tEfttNS_16tensor_operation12element_wise11PassThroughES9_S9_LNS7_6device18GemmSpecializationE0ELi128ELi16ELi64ELi128ELi8ELi32ELi16ELi16ELi1ELi2ENS_8SequenceIJLi16ELi8ELi1EEEENSC_IJLi1ELi0ELi2EEEESE_Li2ELi8ELi8ELb0ELi0ENSC_IJLi4ELi32ELi1EEEESE_SE_Li2ELi32ELi32ELb0ELi0ELi1ELi1ENSC_IJLi1ELi16ELi1ELi8EEEELi4ELNS_26BlockGemmPipelineSchedulerE1ELNS_24BlockGemmPipelineVersionE1EttLb0ELb1ELb0ELi0ELb0EEELb1ELNS_25InMemoryDataOperationEnumE0ELi2ELNS_10TailNumberE2EEEvNT_8ArgumentE,"axG",@progbits,_ZN2ck27kernel_gemm_xdl_cshuffle_v3INS_28GridwiseGemm_xdl_cshuffle_v3INS_13tensor_layout4gemm8RowMajorENS3_11ColumnMajorES4_tNS_7pk_i4_tEfttNS_16tensor_operation12element_wise11PassThroughES9_S9_LNS7_6device18GemmSpecializationE0ELi128ELi16ELi64ELi128ELi8ELi32ELi16ELi16ELi1ELi2ENS_8SequenceIJLi16ELi8ELi1EEEENSC_IJLi1ELi0ELi2EEEESE_Li2ELi8ELi8ELb0ELi0ENSC_IJLi4ELi32ELi1EEEESE_SE_Li2ELi32ELi32ELb0ELi0ELi1ELi1ENSC_IJLi1ELi16ELi1ELi8EEEELi4ELNS_26BlockGemmPipelineSchedulerE1ELNS_24BlockGemmPipelineVersionE1EttLb0ELb1ELb0ELi0ELb0EEELb1ELNS_25InMemoryDataOperationEnumE0ELi2ELNS_10TailNumberE2EEEvNT_8ArgumentE,comdat
.Lfunc_end3:
	.size	_ZN2ck27kernel_gemm_xdl_cshuffle_v3INS_28GridwiseGemm_xdl_cshuffle_v3INS_13tensor_layout4gemm8RowMajorENS3_11ColumnMajorES4_tNS_7pk_i4_tEfttNS_16tensor_operation12element_wise11PassThroughES9_S9_LNS7_6device18GemmSpecializationE0ELi128ELi16ELi64ELi128ELi8ELi32ELi16ELi16ELi1ELi2ENS_8SequenceIJLi16ELi8ELi1EEEENSC_IJLi1ELi0ELi2EEEESE_Li2ELi8ELi8ELb0ELi0ENSC_IJLi4ELi32ELi1EEEESE_SE_Li2ELi32ELi32ELb0ELi0ELi1ELi1ENSC_IJLi1ELi16ELi1ELi8EEEELi4ELNS_26BlockGemmPipelineSchedulerE1ELNS_24BlockGemmPipelineVersionE1EttLb0ELb1ELb0ELi0ELb0EEELb1ELNS_25InMemoryDataOperationEnumE0ELi2ELNS_10TailNumberE2EEEvNT_8ArgumentE, .Lfunc_end3-_ZN2ck27kernel_gemm_xdl_cshuffle_v3INS_28GridwiseGemm_xdl_cshuffle_v3INS_13tensor_layout4gemm8RowMajorENS3_11ColumnMajorES4_tNS_7pk_i4_tEfttNS_16tensor_operation12element_wise11PassThroughES9_S9_LNS7_6device18GemmSpecializationE0ELi128ELi16ELi64ELi128ELi8ELi32ELi16ELi16ELi1ELi2ENS_8SequenceIJLi16ELi8ELi1EEEENSC_IJLi1ELi0ELi2EEEESE_Li2ELi8ELi8ELb0ELi0ENSC_IJLi4ELi32ELi1EEEESE_SE_Li2ELi32ELi32ELb0ELi0ELi1ELi1ENSC_IJLi1ELi16ELi1ELi8EEEELi4ELNS_26BlockGemmPipelineSchedulerE1ELNS_24BlockGemmPipelineVersionE1EttLb0ELb1ELb0ELi0ELb0EEELb1ELNS_25InMemoryDataOperationEnumE0ELi2ELNS_10TailNumberE2EEEvNT_8ArgumentE
                                        ; -- End function
	.section	.AMDGPU.csdata,"",@progbits
; Kernel info:
; codeLenInByte = 4
; NumSgprs: 0
; NumVgprs: 0
; ScratchSize: 0
; MemoryBound: 0
; FloatMode: 240
; IeeeMode: 1
; LDSByteSize: 0 bytes/workgroup (compile time only)
; SGPRBlocks: 0
; VGPRBlocks: 0
; NumSGPRsForWavesPerEU: 1
; NumVGPRsForWavesPerEU: 1
; Occupancy: 16
; WaveLimiterHint : 0
; COMPUTE_PGM_RSRC2:SCRATCH_EN: 0
; COMPUTE_PGM_RSRC2:USER_SGPR: 15
; COMPUTE_PGM_RSRC2:TRAP_HANDLER: 0
; COMPUTE_PGM_RSRC2:TGID_X_EN: 1
; COMPUTE_PGM_RSRC2:TGID_Y_EN: 0
; COMPUTE_PGM_RSRC2:TGID_Z_EN: 0
; COMPUTE_PGM_RSRC2:TIDIG_COMP_CNT: 0
	.section	.text._ZN2ck27kernel_gemm_xdl_cshuffle_v3INS_28GridwiseGemm_xdl_cshuffle_v3INS_13tensor_layout4gemm8RowMajorENS3_11ColumnMajorES4_tNS_7pk_i4_tEfttNS_16tensor_operation12element_wise11PassThroughES9_S9_LNS7_6device18GemmSpecializationE0ELi128ELi16ELi64ELi128ELi8ELi32ELi16ELi16ELi1ELi2ENS_8SequenceIJLi16ELi8ELi1EEEENSC_IJLi1ELi0ELi2EEEESE_Li2ELi8ELi8ELb0ELi0ENSC_IJLi4ELi32ELi1EEEESE_SE_Li2ELi32ELi32ELb0ELi0ELi1ELi1ENSC_IJLi1ELi16ELi1ELi8EEEELi4ELNS_26BlockGemmPipelineSchedulerE1ELNS_24BlockGemmPipelineVersionE1EttLb0ELb1ELb0ELi0ELb0EEELb1ELNS_25InMemoryDataOperationEnumE0ELi2ELNS_10TailNumberE10EEEvNT_8ArgumentE,"axG",@progbits,_ZN2ck27kernel_gemm_xdl_cshuffle_v3INS_28GridwiseGemm_xdl_cshuffle_v3INS_13tensor_layout4gemm8RowMajorENS3_11ColumnMajorES4_tNS_7pk_i4_tEfttNS_16tensor_operation12element_wise11PassThroughES9_S9_LNS7_6device18GemmSpecializationE0ELi128ELi16ELi64ELi128ELi8ELi32ELi16ELi16ELi1ELi2ENS_8SequenceIJLi16ELi8ELi1EEEENSC_IJLi1ELi0ELi2EEEESE_Li2ELi8ELi8ELb0ELi0ENSC_IJLi4ELi32ELi1EEEESE_SE_Li2ELi32ELi32ELb0ELi0ELi1ELi1ENSC_IJLi1ELi16ELi1ELi8EEEELi4ELNS_26BlockGemmPipelineSchedulerE1ELNS_24BlockGemmPipelineVersionE1EttLb0ELb1ELb0ELi0ELb0EEELb1ELNS_25InMemoryDataOperationEnumE0ELi2ELNS_10TailNumberE10EEEvNT_8ArgumentE,comdat
	.protected	_ZN2ck27kernel_gemm_xdl_cshuffle_v3INS_28GridwiseGemm_xdl_cshuffle_v3INS_13tensor_layout4gemm8RowMajorENS3_11ColumnMajorES4_tNS_7pk_i4_tEfttNS_16tensor_operation12element_wise11PassThroughES9_S9_LNS7_6device18GemmSpecializationE0ELi128ELi16ELi64ELi128ELi8ELi32ELi16ELi16ELi1ELi2ENS_8SequenceIJLi16ELi8ELi1EEEENSC_IJLi1ELi0ELi2EEEESE_Li2ELi8ELi8ELb0ELi0ENSC_IJLi4ELi32ELi1EEEESE_SE_Li2ELi32ELi32ELb0ELi0ELi1ELi1ENSC_IJLi1ELi16ELi1ELi8EEEELi4ELNS_26BlockGemmPipelineSchedulerE1ELNS_24BlockGemmPipelineVersionE1EttLb0ELb1ELb0ELi0ELb0EEELb1ELNS_25InMemoryDataOperationEnumE0ELi2ELNS_10TailNumberE10EEEvNT_8ArgumentE ; -- Begin function _ZN2ck27kernel_gemm_xdl_cshuffle_v3INS_28GridwiseGemm_xdl_cshuffle_v3INS_13tensor_layout4gemm8RowMajorENS3_11ColumnMajorES4_tNS_7pk_i4_tEfttNS_16tensor_operation12element_wise11PassThroughES9_S9_LNS7_6device18GemmSpecializationE0ELi128ELi16ELi64ELi128ELi8ELi32ELi16ELi16ELi1ELi2ENS_8SequenceIJLi16ELi8ELi1EEEENSC_IJLi1ELi0ELi2EEEESE_Li2ELi8ELi8ELb0ELi0ENSC_IJLi4ELi32ELi1EEEESE_SE_Li2ELi32ELi32ELb0ELi0ELi1ELi1ENSC_IJLi1ELi16ELi1ELi8EEEELi4ELNS_26BlockGemmPipelineSchedulerE1ELNS_24BlockGemmPipelineVersionE1EttLb0ELb1ELb0ELi0ELb0EEELb1ELNS_25InMemoryDataOperationEnumE0ELi2ELNS_10TailNumberE10EEEvNT_8ArgumentE
	.globl	_ZN2ck27kernel_gemm_xdl_cshuffle_v3INS_28GridwiseGemm_xdl_cshuffle_v3INS_13tensor_layout4gemm8RowMajorENS3_11ColumnMajorES4_tNS_7pk_i4_tEfttNS_16tensor_operation12element_wise11PassThroughES9_S9_LNS7_6device18GemmSpecializationE0ELi128ELi16ELi64ELi128ELi8ELi32ELi16ELi16ELi1ELi2ENS_8SequenceIJLi16ELi8ELi1EEEENSC_IJLi1ELi0ELi2EEEESE_Li2ELi8ELi8ELb0ELi0ENSC_IJLi4ELi32ELi1EEEESE_SE_Li2ELi32ELi32ELb0ELi0ELi1ELi1ENSC_IJLi1ELi16ELi1ELi8EEEELi4ELNS_26BlockGemmPipelineSchedulerE1ELNS_24BlockGemmPipelineVersionE1EttLb0ELb1ELb0ELi0ELb0EEELb1ELNS_25InMemoryDataOperationEnumE0ELi2ELNS_10TailNumberE10EEEvNT_8ArgumentE
	.p2align	8
	.type	_ZN2ck27kernel_gemm_xdl_cshuffle_v3INS_28GridwiseGemm_xdl_cshuffle_v3INS_13tensor_layout4gemm8RowMajorENS3_11ColumnMajorES4_tNS_7pk_i4_tEfttNS_16tensor_operation12element_wise11PassThroughES9_S9_LNS7_6device18GemmSpecializationE0ELi128ELi16ELi64ELi128ELi8ELi32ELi16ELi16ELi1ELi2ENS_8SequenceIJLi16ELi8ELi1EEEENSC_IJLi1ELi0ELi2EEEESE_Li2ELi8ELi8ELb0ELi0ENSC_IJLi4ELi32ELi1EEEESE_SE_Li2ELi32ELi32ELb0ELi0ELi1ELi1ENSC_IJLi1ELi16ELi1ELi8EEEELi4ELNS_26BlockGemmPipelineSchedulerE1ELNS_24BlockGemmPipelineVersionE1EttLb0ELb1ELb0ELi0ELb0EEELb1ELNS_25InMemoryDataOperationEnumE0ELi2ELNS_10TailNumberE10EEEvNT_8ArgumentE,@function
_ZN2ck27kernel_gemm_xdl_cshuffle_v3INS_28GridwiseGemm_xdl_cshuffle_v3INS_13tensor_layout4gemm8RowMajorENS3_11ColumnMajorES4_tNS_7pk_i4_tEfttNS_16tensor_operation12element_wise11PassThroughES9_S9_LNS7_6device18GemmSpecializationE0ELi128ELi16ELi64ELi128ELi8ELi32ELi16ELi16ELi1ELi2ENS_8SequenceIJLi16ELi8ELi1EEEENSC_IJLi1ELi0ELi2EEEESE_Li2ELi8ELi8ELb0ELi0ENSC_IJLi4ELi32ELi1EEEESE_SE_Li2ELi32ELi32ELb0ELi0ELi1ELi1ENSC_IJLi1ELi16ELi1ELi8EEEELi4ELNS_26BlockGemmPipelineSchedulerE1ELNS_24BlockGemmPipelineVersionE1EttLb0ELb1ELb0ELi0ELb0EEELb1ELNS_25InMemoryDataOperationEnumE0ELi2ELNS_10TailNumberE10EEEvNT_8ArgumentE: ; @_ZN2ck27kernel_gemm_xdl_cshuffle_v3INS_28GridwiseGemm_xdl_cshuffle_v3INS_13tensor_layout4gemm8RowMajorENS3_11ColumnMajorES4_tNS_7pk_i4_tEfttNS_16tensor_operation12element_wise11PassThroughES9_S9_LNS7_6device18GemmSpecializationE0ELi128ELi16ELi64ELi128ELi8ELi32ELi16ELi16ELi1ELi2ENS_8SequenceIJLi16ELi8ELi1EEEENSC_IJLi1ELi0ELi2EEEESE_Li2ELi8ELi8ELb0ELi0ENSC_IJLi4ELi32ELi1EEEESE_SE_Li2ELi32ELi32ELb0ELi0ELi1ELi1ENSC_IJLi1ELi16ELi1ELi8EEEELi4ELNS_26BlockGemmPipelineSchedulerE1ELNS_24BlockGemmPipelineVersionE1EttLb0ELb1ELb0ELi0ELb0EEELb1ELNS_25InMemoryDataOperationEnumE0ELi2ELNS_10TailNumberE10EEEvNT_8ArgumentE
; %bb.0:
	s_endpgm
	.section	.rodata,"a",@progbits
	.p2align	6, 0x0
	.amdhsa_kernel _ZN2ck27kernel_gemm_xdl_cshuffle_v3INS_28GridwiseGemm_xdl_cshuffle_v3INS_13tensor_layout4gemm8RowMajorENS3_11ColumnMajorES4_tNS_7pk_i4_tEfttNS_16tensor_operation12element_wise11PassThroughES9_S9_LNS7_6device18GemmSpecializationE0ELi128ELi16ELi64ELi128ELi8ELi32ELi16ELi16ELi1ELi2ENS_8SequenceIJLi16ELi8ELi1EEEENSC_IJLi1ELi0ELi2EEEESE_Li2ELi8ELi8ELb0ELi0ENSC_IJLi4ELi32ELi1EEEESE_SE_Li2ELi32ELi32ELb0ELi0ELi1ELi1ENSC_IJLi1ELi16ELi1ELi8EEEELi4ELNS_26BlockGemmPipelineSchedulerE1ELNS_24BlockGemmPipelineVersionE1EttLb0ELb1ELb0ELi0ELb0EEELb1ELNS_25InMemoryDataOperationEnumE0ELi2ELNS_10TailNumberE10EEEvNT_8ArgumentE
		.amdhsa_group_segment_fixed_size 0
		.amdhsa_private_segment_fixed_size 0
		.amdhsa_kernarg_size 112
		.amdhsa_user_sgpr_count 15
		.amdhsa_user_sgpr_dispatch_ptr 0
		.amdhsa_user_sgpr_queue_ptr 0
		.amdhsa_user_sgpr_kernarg_segment_ptr 1
		.amdhsa_user_sgpr_dispatch_id 0
		.amdhsa_user_sgpr_private_segment_size 0
		.amdhsa_wavefront_size32 1
		.amdhsa_uses_dynamic_stack 0
		.amdhsa_enable_private_segment 0
		.amdhsa_system_sgpr_workgroup_id_x 1
		.amdhsa_system_sgpr_workgroup_id_y 0
		.amdhsa_system_sgpr_workgroup_id_z 0
		.amdhsa_system_sgpr_workgroup_info 0
		.amdhsa_system_vgpr_workitem_id 0
		.amdhsa_next_free_vgpr 1
		.amdhsa_next_free_sgpr 1
		.amdhsa_reserve_vcc 0
		.amdhsa_float_round_mode_32 0
		.amdhsa_float_round_mode_16_64 0
		.amdhsa_float_denorm_mode_32 3
		.amdhsa_float_denorm_mode_16_64 3
		.amdhsa_dx10_clamp 1
		.amdhsa_ieee_mode 1
		.amdhsa_fp16_overflow 0
		.amdhsa_workgroup_processor_mode 1
		.amdhsa_memory_ordered 1
		.amdhsa_forward_progress 0
		.amdhsa_shared_vgpr_count 0
		.amdhsa_exception_fp_ieee_invalid_op 0
		.amdhsa_exception_fp_denorm_src 0
		.amdhsa_exception_fp_ieee_div_zero 0
		.amdhsa_exception_fp_ieee_overflow 0
		.amdhsa_exception_fp_ieee_underflow 0
		.amdhsa_exception_fp_ieee_inexact 0
		.amdhsa_exception_int_div_zero 0
	.end_amdhsa_kernel
	.section	.text._ZN2ck27kernel_gemm_xdl_cshuffle_v3INS_28GridwiseGemm_xdl_cshuffle_v3INS_13tensor_layout4gemm8RowMajorENS3_11ColumnMajorES4_tNS_7pk_i4_tEfttNS_16tensor_operation12element_wise11PassThroughES9_S9_LNS7_6device18GemmSpecializationE0ELi128ELi16ELi64ELi128ELi8ELi32ELi16ELi16ELi1ELi2ENS_8SequenceIJLi16ELi8ELi1EEEENSC_IJLi1ELi0ELi2EEEESE_Li2ELi8ELi8ELb0ELi0ENSC_IJLi4ELi32ELi1EEEESE_SE_Li2ELi32ELi32ELb0ELi0ELi1ELi1ENSC_IJLi1ELi16ELi1ELi8EEEELi4ELNS_26BlockGemmPipelineSchedulerE1ELNS_24BlockGemmPipelineVersionE1EttLb0ELb1ELb0ELi0ELb0EEELb1ELNS_25InMemoryDataOperationEnumE0ELi2ELNS_10TailNumberE10EEEvNT_8ArgumentE,"axG",@progbits,_ZN2ck27kernel_gemm_xdl_cshuffle_v3INS_28GridwiseGemm_xdl_cshuffle_v3INS_13tensor_layout4gemm8RowMajorENS3_11ColumnMajorES4_tNS_7pk_i4_tEfttNS_16tensor_operation12element_wise11PassThroughES9_S9_LNS7_6device18GemmSpecializationE0ELi128ELi16ELi64ELi128ELi8ELi32ELi16ELi16ELi1ELi2ENS_8SequenceIJLi16ELi8ELi1EEEENSC_IJLi1ELi0ELi2EEEESE_Li2ELi8ELi8ELb0ELi0ENSC_IJLi4ELi32ELi1EEEESE_SE_Li2ELi32ELi32ELb0ELi0ELi1ELi1ENSC_IJLi1ELi16ELi1ELi8EEEELi4ELNS_26BlockGemmPipelineSchedulerE1ELNS_24BlockGemmPipelineVersionE1EttLb0ELb1ELb0ELi0ELb0EEELb1ELNS_25InMemoryDataOperationEnumE0ELi2ELNS_10TailNumberE10EEEvNT_8ArgumentE,comdat
.Lfunc_end4:
	.size	_ZN2ck27kernel_gemm_xdl_cshuffle_v3INS_28GridwiseGemm_xdl_cshuffle_v3INS_13tensor_layout4gemm8RowMajorENS3_11ColumnMajorES4_tNS_7pk_i4_tEfttNS_16tensor_operation12element_wise11PassThroughES9_S9_LNS7_6device18GemmSpecializationE0ELi128ELi16ELi64ELi128ELi8ELi32ELi16ELi16ELi1ELi2ENS_8SequenceIJLi16ELi8ELi1EEEENSC_IJLi1ELi0ELi2EEEESE_Li2ELi8ELi8ELb0ELi0ENSC_IJLi4ELi32ELi1EEEESE_SE_Li2ELi32ELi32ELb0ELi0ELi1ELi1ENSC_IJLi1ELi16ELi1ELi8EEEELi4ELNS_26BlockGemmPipelineSchedulerE1ELNS_24BlockGemmPipelineVersionE1EttLb0ELb1ELb0ELi0ELb0EEELb1ELNS_25InMemoryDataOperationEnumE0ELi2ELNS_10TailNumberE10EEEvNT_8ArgumentE, .Lfunc_end4-_ZN2ck27kernel_gemm_xdl_cshuffle_v3INS_28GridwiseGemm_xdl_cshuffle_v3INS_13tensor_layout4gemm8RowMajorENS3_11ColumnMajorES4_tNS_7pk_i4_tEfttNS_16tensor_operation12element_wise11PassThroughES9_S9_LNS7_6device18GemmSpecializationE0ELi128ELi16ELi64ELi128ELi8ELi32ELi16ELi16ELi1ELi2ENS_8SequenceIJLi16ELi8ELi1EEEENSC_IJLi1ELi0ELi2EEEESE_Li2ELi8ELi8ELb0ELi0ENSC_IJLi4ELi32ELi1EEEESE_SE_Li2ELi32ELi32ELb0ELi0ELi1ELi1ENSC_IJLi1ELi16ELi1ELi8EEEELi4ELNS_26BlockGemmPipelineSchedulerE1ELNS_24BlockGemmPipelineVersionE1EttLb0ELb1ELb0ELi0ELb0EEELb1ELNS_25InMemoryDataOperationEnumE0ELi2ELNS_10TailNumberE10EEEvNT_8ArgumentE
                                        ; -- End function
	.section	.AMDGPU.csdata,"",@progbits
; Kernel info:
; codeLenInByte = 4
; NumSgprs: 0
; NumVgprs: 0
; ScratchSize: 0
; MemoryBound: 0
; FloatMode: 240
; IeeeMode: 1
; LDSByteSize: 0 bytes/workgroup (compile time only)
; SGPRBlocks: 0
; VGPRBlocks: 0
; NumSGPRsForWavesPerEU: 1
; NumVGPRsForWavesPerEU: 1
; Occupancy: 16
; WaveLimiterHint : 0
; COMPUTE_PGM_RSRC2:SCRATCH_EN: 0
; COMPUTE_PGM_RSRC2:USER_SGPR: 15
; COMPUTE_PGM_RSRC2:TRAP_HANDLER: 0
; COMPUTE_PGM_RSRC2:TGID_X_EN: 1
; COMPUTE_PGM_RSRC2:TGID_Y_EN: 0
; COMPUTE_PGM_RSRC2:TGID_Z_EN: 0
; COMPUTE_PGM_RSRC2:TIDIG_COMP_CNT: 0
	.section	.text._ZN2ck27kernel_gemm_xdl_cshuffle_v3INS_28GridwiseGemm_xdl_cshuffle_v3INS_13tensor_layout4gemm8RowMajorENS3_11ColumnMajorES4_tNS_7pk_i4_tEfttNS_16tensor_operation12element_wise11PassThroughES9_S9_LNS7_6device18GemmSpecializationE0ELi128ELi16ELi64ELi128ELi8ELi32ELi16ELi16ELi1ELi1ENS_8SequenceIJLi16ELi8ELi1EEEENSC_IJLi1ELi0ELi2EEEESE_Li2ELi8ELi8ELb0ELi0ENSC_IJLi4ELi32ELi1EEEESE_SE_Li2ELi32ELi32ELb0ELi0ELi1ELi1ENSC_IJLi1ELi16ELi1ELi8EEEELi4ELNS_26BlockGemmPipelineSchedulerE1ELNS_24BlockGemmPipelineVersionE1EttLb0ELb1ELb0ELi0ELb0EEELb1ELNS_25InMemoryDataOperationEnumE1ELi2ELNS_10TailNumberE2EEEvNT_8ArgumentE,"axG",@progbits,_ZN2ck27kernel_gemm_xdl_cshuffle_v3INS_28GridwiseGemm_xdl_cshuffle_v3INS_13tensor_layout4gemm8RowMajorENS3_11ColumnMajorES4_tNS_7pk_i4_tEfttNS_16tensor_operation12element_wise11PassThroughES9_S9_LNS7_6device18GemmSpecializationE0ELi128ELi16ELi64ELi128ELi8ELi32ELi16ELi16ELi1ELi1ENS_8SequenceIJLi16ELi8ELi1EEEENSC_IJLi1ELi0ELi2EEEESE_Li2ELi8ELi8ELb0ELi0ENSC_IJLi4ELi32ELi1EEEESE_SE_Li2ELi32ELi32ELb0ELi0ELi1ELi1ENSC_IJLi1ELi16ELi1ELi8EEEELi4ELNS_26BlockGemmPipelineSchedulerE1ELNS_24BlockGemmPipelineVersionE1EttLb0ELb1ELb0ELi0ELb0EEELb1ELNS_25InMemoryDataOperationEnumE1ELi2ELNS_10TailNumberE2EEEvNT_8ArgumentE,comdat
	.protected	_ZN2ck27kernel_gemm_xdl_cshuffle_v3INS_28GridwiseGemm_xdl_cshuffle_v3INS_13tensor_layout4gemm8RowMajorENS3_11ColumnMajorES4_tNS_7pk_i4_tEfttNS_16tensor_operation12element_wise11PassThroughES9_S9_LNS7_6device18GemmSpecializationE0ELi128ELi16ELi64ELi128ELi8ELi32ELi16ELi16ELi1ELi1ENS_8SequenceIJLi16ELi8ELi1EEEENSC_IJLi1ELi0ELi2EEEESE_Li2ELi8ELi8ELb0ELi0ENSC_IJLi4ELi32ELi1EEEESE_SE_Li2ELi32ELi32ELb0ELi0ELi1ELi1ENSC_IJLi1ELi16ELi1ELi8EEEELi4ELNS_26BlockGemmPipelineSchedulerE1ELNS_24BlockGemmPipelineVersionE1EttLb0ELb1ELb0ELi0ELb0EEELb1ELNS_25InMemoryDataOperationEnumE1ELi2ELNS_10TailNumberE2EEEvNT_8ArgumentE ; -- Begin function _ZN2ck27kernel_gemm_xdl_cshuffle_v3INS_28GridwiseGemm_xdl_cshuffle_v3INS_13tensor_layout4gemm8RowMajorENS3_11ColumnMajorES4_tNS_7pk_i4_tEfttNS_16tensor_operation12element_wise11PassThroughES9_S9_LNS7_6device18GemmSpecializationE0ELi128ELi16ELi64ELi128ELi8ELi32ELi16ELi16ELi1ELi1ENS_8SequenceIJLi16ELi8ELi1EEEENSC_IJLi1ELi0ELi2EEEESE_Li2ELi8ELi8ELb0ELi0ENSC_IJLi4ELi32ELi1EEEESE_SE_Li2ELi32ELi32ELb0ELi0ELi1ELi1ENSC_IJLi1ELi16ELi1ELi8EEEELi4ELNS_26BlockGemmPipelineSchedulerE1ELNS_24BlockGemmPipelineVersionE1EttLb0ELb1ELb0ELi0ELb0EEELb1ELNS_25InMemoryDataOperationEnumE1ELi2ELNS_10TailNumberE2EEEvNT_8ArgumentE
	.globl	_ZN2ck27kernel_gemm_xdl_cshuffle_v3INS_28GridwiseGemm_xdl_cshuffle_v3INS_13tensor_layout4gemm8RowMajorENS3_11ColumnMajorES4_tNS_7pk_i4_tEfttNS_16tensor_operation12element_wise11PassThroughES9_S9_LNS7_6device18GemmSpecializationE0ELi128ELi16ELi64ELi128ELi8ELi32ELi16ELi16ELi1ELi1ENS_8SequenceIJLi16ELi8ELi1EEEENSC_IJLi1ELi0ELi2EEEESE_Li2ELi8ELi8ELb0ELi0ENSC_IJLi4ELi32ELi1EEEESE_SE_Li2ELi32ELi32ELb0ELi0ELi1ELi1ENSC_IJLi1ELi16ELi1ELi8EEEELi4ELNS_26BlockGemmPipelineSchedulerE1ELNS_24BlockGemmPipelineVersionE1EttLb0ELb1ELb0ELi0ELb0EEELb1ELNS_25InMemoryDataOperationEnumE1ELi2ELNS_10TailNumberE2EEEvNT_8ArgumentE
	.p2align	8
	.type	_ZN2ck27kernel_gemm_xdl_cshuffle_v3INS_28GridwiseGemm_xdl_cshuffle_v3INS_13tensor_layout4gemm8RowMajorENS3_11ColumnMajorES4_tNS_7pk_i4_tEfttNS_16tensor_operation12element_wise11PassThroughES9_S9_LNS7_6device18GemmSpecializationE0ELi128ELi16ELi64ELi128ELi8ELi32ELi16ELi16ELi1ELi1ENS_8SequenceIJLi16ELi8ELi1EEEENSC_IJLi1ELi0ELi2EEEESE_Li2ELi8ELi8ELb0ELi0ENSC_IJLi4ELi32ELi1EEEESE_SE_Li2ELi32ELi32ELb0ELi0ELi1ELi1ENSC_IJLi1ELi16ELi1ELi8EEEELi4ELNS_26BlockGemmPipelineSchedulerE1ELNS_24BlockGemmPipelineVersionE1EttLb0ELb1ELb0ELi0ELb0EEELb1ELNS_25InMemoryDataOperationEnumE1ELi2ELNS_10TailNumberE2EEEvNT_8ArgumentE,@function
_ZN2ck27kernel_gemm_xdl_cshuffle_v3INS_28GridwiseGemm_xdl_cshuffle_v3INS_13tensor_layout4gemm8RowMajorENS3_11ColumnMajorES4_tNS_7pk_i4_tEfttNS_16tensor_operation12element_wise11PassThroughES9_S9_LNS7_6device18GemmSpecializationE0ELi128ELi16ELi64ELi128ELi8ELi32ELi16ELi16ELi1ELi1ENS_8SequenceIJLi16ELi8ELi1EEEENSC_IJLi1ELi0ELi2EEEESE_Li2ELi8ELi8ELb0ELi0ENSC_IJLi4ELi32ELi1EEEESE_SE_Li2ELi32ELi32ELb0ELi0ELi1ELi1ENSC_IJLi1ELi16ELi1ELi8EEEELi4ELNS_26BlockGemmPipelineSchedulerE1ELNS_24BlockGemmPipelineVersionE1EttLb0ELb1ELb0ELi0ELb0EEELb1ELNS_25InMemoryDataOperationEnumE1ELi2ELNS_10TailNumberE2EEEvNT_8ArgumentE: ; @_ZN2ck27kernel_gemm_xdl_cshuffle_v3INS_28GridwiseGemm_xdl_cshuffle_v3INS_13tensor_layout4gemm8RowMajorENS3_11ColumnMajorES4_tNS_7pk_i4_tEfttNS_16tensor_operation12element_wise11PassThroughES9_S9_LNS7_6device18GemmSpecializationE0ELi128ELi16ELi64ELi128ELi8ELi32ELi16ELi16ELi1ELi1ENS_8SequenceIJLi16ELi8ELi1EEEENSC_IJLi1ELi0ELi2EEEESE_Li2ELi8ELi8ELb0ELi0ENSC_IJLi4ELi32ELi1EEEESE_SE_Li2ELi32ELi32ELb0ELi0ELi1ELi1ENSC_IJLi1ELi16ELi1ELi8EEEELi4ELNS_26BlockGemmPipelineSchedulerE1ELNS_24BlockGemmPipelineVersionE1EttLb0ELb1ELb0ELi0ELb0EEELb1ELNS_25InMemoryDataOperationEnumE1ELi2ELNS_10TailNumberE2EEEvNT_8ArgumentE
; %bb.0:
	s_endpgm
	.section	.rodata,"a",@progbits
	.p2align	6, 0x0
	.amdhsa_kernel _ZN2ck27kernel_gemm_xdl_cshuffle_v3INS_28GridwiseGemm_xdl_cshuffle_v3INS_13tensor_layout4gemm8RowMajorENS3_11ColumnMajorES4_tNS_7pk_i4_tEfttNS_16tensor_operation12element_wise11PassThroughES9_S9_LNS7_6device18GemmSpecializationE0ELi128ELi16ELi64ELi128ELi8ELi32ELi16ELi16ELi1ELi1ENS_8SequenceIJLi16ELi8ELi1EEEENSC_IJLi1ELi0ELi2EEEESE_Li2ELi8ELi8ELb0ELi0ENSC_IJLi4ELi32ELi1EEEESE_SE_Li2ELi32ELi32ELb0ELi0ELi1ELi1ENSC_IJLi1ELi16ELi1ELi8EEEELi4ELNS_26BlockGemmPipelineSchedulerE1ELNS_24BlockGemmPipelineVersionE1EttLb0ELb1ELb0ELi0ELb0EEELb1ELNS_25InMemoryDataOperationEnumE1ELi2ELNS_10TailNumberE2EEEvNT_8ArgumentE
		.amdhsa_group_segment_fixed_size 0
		.amdhsa_private_segment_fixed_size 0
		.amdhsa_kernarg_size 112
		.amdhsa_user_sgpr_count 15
		.amdhsa_user_sgpr_dispatch_ptr 0
		.amdhsa_user_sgpr_queue_ptr 0
		.amdhsa_user_sgpr_kernarg_segment_ptr 1
		.amdhsa_user_sgpr_dispatch_id 0
		.amdhsa_user_sgpr_private_segment_size 0
		.amdhsa_wavefront_size32 1
		.amdhsa_uses_dynamic_stack 0
		.amdhsa_enable_private_segment 0
		.amdhsa_system_sgpr_workgroup_id_x 1
		.amdhsa_system_sgpr_workgroup_id_y 0
		.amdhsa_system_sgpr_workgroup_id_z 0
		.amdhsa_system_sgpr_workgroup_info 0
		.amdhsa_system_vgpr_workitem_id 0
		.amdhsa_next_free_vgpr 1
		.amdhsa_next_free_sgpr 1
		.amdhsa_reserve_vcc 0
		.amdhsa_float_round_mode_32 0
		.amdhsa_float_round_mode_16_64 0
		.amdhsa_float_denorm_mode_32 3
		.amdhsa_float_denorm_mode_16_64 3
		.amdhsa_dx10_clamp 1
		.amdhsa_ieee_mode 1
		.amdhsa_fp16_overflow 0
		.amdhsa_workgroup_processor_mode 1
		.amdhsa_memory_ordered 1
		.amdhsa_forward_progress 0
		.amdhsa_shared_vgpr_count 0
		.amdhsa_exception_fp_ieee_invalid_op 0
		.amdhsa_exception_fp_denorm_src 0
		.amdhsa_exception_fp_ieee_div_zero 0
		.amdhsa_exception_fp_ieee_overflow 0
		.amdhsa_exception_fp_ieee_underflow 0
		.amdhsa_exception_fp_ieee_inexact 0
		.amdhsa_exception_int_div_zero 0
	.end_amdhsa_kernel
	.section	.text._ZN2ck27kernel_gemm_xdl_cshuffle_v3INS_28GridwiseGemm_xdl_cshuffle_v3INS_13tensor_layout4gemm8RowMajorENS3_11ColumnMajorES4_tNS_7pk_i4_tEfttNS_16tensor_operation12element_wise11PassThroughES9_S9_LNS7_6device18GemmSpecializationE0ELi128ELi16ELi64ELi128ELi8ELi32ELi16ELi16ELi1ELi1ENS_8SequenceIJLi16ELi8ELi1EEEENSC_IJLi1ELi0ELi2EEEESE_Li2ELi8ELi8ELb0ELi0ENSC_IJLi4ELi32ELi1EEEESE_SE_Li2ELi32ELi32ELb0ELi0ELi1ELi1ENSC_IJLi1ELi16ELi1ELi8EEEELi4ELNS_26BlockGemmPipelineSchedulerE1ELNS_24BlockGemmPipelineVersionE1EttLb0ELb1ELb0ELi0ELb0EEELb1ELNS_25InMemoryDataOperationEnumE1ELi2ELNS_10TailNumberE2EEEvNT_8ArgumentE,"axG",@progbits,_ZN2ck27kernel_gemm_xdl_cshuffle_v3INS_28GridwiseGemm_xdl_cshuffle_v3INS_13tensor_layout4gemm8RowMajorENS3_11ColumnMajorES4_tNS_7pk_i4_tEfttNS_16tensor_operation12element_wise11PassThroughES9_S9_LNS7_6device18GemmSpecializationE0ELi128ELi16ELi64ELi128ELi8ELi32ELi16ELi16ELi1ELi1ENS_8SequenceIJLi16ELi8ELi1EEEENSC_IJLi1ELi0ELi2EEEESE_Li2ELi8ELi8ELb0ELi0ENSC_IJLi4ELi32ELi1EEEESE_SE_Li2ELi32ELi32ELb0ELi0ELi1ELi1ENSC_IJLi1ELi16ELi1ELi8EEEELi4ELNS_26BlockGemmPipelineSchedulerE1ELNS_24BlockGemmPipelineVersionE1EttLb0ELb1ELb0ELi0ELb0EEELb1ELNS_25InMemoryDataOperationEnumE1ELi2ELNS_10TailNumberE2EEEvNT_8ArgumentE,comdat
.Lfunc_end5:
	.size	_ZN2ck27kernel_gemm_xdl_cshuffle_v3INS_28GridwiseGemm_xdl_cshuffle_v3INS_13tensor_layout4gemm8RowMajorENS3_11ColumnMajorES4_tNS_7pk_i4_tEfttNS_16tensor_operation12element_wise11PassThroughES9_S9_LNS7_6device18GemmSpecializationE0ELi128ELi16ELi64ELi128ELi8ELi32ELi16ELi16ELi1ELi1ENS_8SequenceIJLi16ELi8ELi1EEEENSC_IJLi1ELi0ELi2EEEESE_Li2ELi8ELi8ELb0ELi0ENSC_IJLi4ELi32ELi1EEEESE_SE_Li2ELi32ELi32ELb0ELi0ELi1ELi1ENSC_IJLi1ELi16ELi1ELi8EEEELi4ELNS_26BlockGemmPipelineSchedulerE1ELNS_24BlockGemmPipelineVersionE1EttLb0ELb1ELb0ELi0ELb0EEELb1ELNS_25InMemoryDataOperationEnumE1ELi2ELNS_10TailNumberE2EEEvNT_8ArgumentE, .Lfunc_end5-_ZN2ck27kernel_gemm_xdl_cshuffle_v3INS_28GridwiseGemm_xdl_cshuffle_v3INS_13tensor_layout4gemm8RowMajorENS3_11ColumnMajorES4_tNS_7pk_i4_tEfttNS_16tensor_operation12element_wise11PassThroughES9_S9_LNS7_6device18GemmSpecializationE0ELi128ELi16ELi64ELi128ELi8ELi32ELi16ELi16ELi1ELi1ENS_8SequenceIJLi16ELi8ELi1EEEENSC_IJLi1ELi0ELi2EEEESE_Li2ELi8ELi8ELb0ELi0ENSC_IJLi4ELi32ELi1EEEESE_SE_Li2ELi32ELi32ELb0ELi0ELi1ELi1ENSC_IJLi1ELi16ELi1ELi8EEEELi4ELNS_26BlockGemmPipelineSchedulerE1ELNS_24BlockGemmPipelineVersionE1EttLb0ELb1ELb0ELi0ELb0EEELb1ELNS_25InMemoryDataOperationEnumE1ELi2ELNS_10TailNumberE2EEEvNT_8ArgumentE
                                        ; -- End function
	.section	.AMDGPU.csdata,"",@progbits
; Kernel info:
; codeLenInByte = 4
; NumSgprs: 0
; NumVgprs: 0
; ScratchSize: 0
; MemoryBound: 0
; FloatMode: 240
; IeeeMode: 1
; LDSByteSize: 0 bytes/workgroup (compile time only)
; SGPRBlocks: 0
; VGPRBlocks: 0
; NumSGPRsForWavesPerEU: 1
; NumVGPRsForWavesPerEU: 1
; Occupancy: 16
; WaveLimiterHint : 0
; COMPUTE_PGM_RSRC2:SCRATCH_EN: 0
; COMPUTE_PGM_RSRC2:USER_SGPR: 15
; COMPUTE_PGM_RSRC2:TRAP_HANDLER: 0
; COMPUTE_PGM_RSRC2:TGID_X_EN: 1
; COMPUTE_PGM_RSRC2:TGID_Y_EN: 0
; COMPUTE_PGM_RSRC2:TGID_Z_EN: 0
; COMPUTE_PGM_RSRC2:TIDIG_COMP_CNT: 0
	.section	.text._ZN2ck27kernel_gemm_xdl_cshuffle_v3INS_28GridwiseGemm_xdl_cshuffle_v3INS_13tensor_layout4gemm8RowMajorENS3_11ColumnMajorES4_tNS_7pk_i4_tEfttNS_16tensor_operation12element_wise11PassThroughES9_S9_LNS7_6device18GemmSpecializationE0ELi128ELi16ELi64ELi128ELi8ELi32ELi16ELi16ELi1ELi1ENS_8SequenceIJLi16ELi8ELi1EEEENSC_IJLi1ELi0ELi2EEEESE_Li2ELi8ELi8ELb0ELi0ENSC_IJLi4ELi32ELi1EEEESE_SE_Li2ELi32ELi32ELb0ELi0ELi1ELi1ENSC_IJLi1ELi16ELi1ELi8EEEELi4ELNS_26BlockGemmPipelineSchedulerE1ELNS_24BlockGemmPipelineVersionE1EttLb0ELb1ELb0ELi0ELb0EEELb1ELNS_25InMemoryDataOperationEnumE1ELi2ELNS_10TailNumberE10EEEvNT_8ArgumentE,"axG",@progbits,_ZN2ck27kernel_gemm_xdl_cshuffle_v3INS_28GridwiseGemm_xdl_cshuffle_v3INS_13tensor_layout4gemm8RowMajorENS3_11ColumnMajorES4_tNS_7pk_i4_tEfttNS_16tensor_operation12element_wise11PassThroughES9_S9_LNS7_6device18GemmSpecializationE0ELi128ELi16ELi64ELi128ELi8ELi32ELi16ELi16ELi1ELi1ENS_8SequenceIJLi16ELi8ELi1EEEENSC_IJLi1ELi0ELi2EEEESE_Li2ELi8ELi8ELb0ELi0ENSC_IJLi4ELi32ELi1EEEESE_SE_Li2ELi32ELi32ELb0ELi0ELi1ELi1ENSC_IJLi1ELi16ELi1ELi8EEEELi4ELNS_26BlockGemmPipelineSchedulerE1ELNS_24BlockGemmPipelineVersionE1EttLb0ELb1ELb0ELi0ELb0EEELb1ELNS_25InMemoryDataOperationEnumE1ELi2ELNS_10TailNumberE10EEEvNT_8ArgumentE,comdat
	.protected	_ZN2ck27kernel_gemm_xdl_cshuffle_v3INS_28GridwiseGemm_xdl_cshuffle_v3INS_13tensor_layout4gemm8RowMajorENS3_11ColumnMajorES4_tNS_7pk_i4_tEfttNS_16tensor_operation12element_wise11PassThroughES9_S9_LNS7_6device18GemmSpecializationE0ELi128ELi16ELi64ELi128ELi8ELi32ELi16ELi16ELi1ELi1ENS_8SequenceIJLi16ELi8ELi1EEEENSC_IJLi1ELi0ELi2EEEESE_Li2ELi8ELi8ELb0ELi0ENSC_IJLi4ELi32ELi1EEEESE_SE_Li2ELi32ELi32ELb0ELi0ELi1ELi1ENSC_IJLi1ELi16ELi1ELi8EEEELi4ELNS_26BlockGemmPipelineSchedulerE1ELNS_24BlockGemmPipelineVersionE1EttLb0ELb1ELb0ELi0ELb0EEELb1ELNS_25InMemoryDataOperationEnumE1ELi2ELNS_10TailNumberE10EEEvNT_8ArgumentE ; -- Begin function _ZN2ck27kernel_gemm_xdl_cshuffle_v3INS_28GridwiseGemm_xdl_cshuffle_v3INS_13tensor_layout4gemm8RowMajorENS3_11ColumnMajorES4_tNS_7pk_i4_tEfttNS_16tensor_operation12element_wise11PassThroughES9_S9_LNS7_6device18GemmSpecializationE0ELi128ELi16ELi64ELi128ELi8ELi32ELi16ELi16ELi1ELi1ENS_8SequenceIJLi16ELi8ELi1EEEENSC_IJLi1ELi0ELi2EEEESE_Li2ELi8ELi8ELb0ELi0ENSC_IJLi4ELi32ELi1EEEESE_SE_Li2ELi32ELi32ELb0ELi0ELi1ELi1ENSC_IJLi1ELi16ELi1ELi8EEEELi4ELNS_26BlockGemmPipelineSchedulerE1ELNS_24BlockGemmPipelineVersionE1EttLb0ELb1ELb0ELi0ELb0EEELb1ELNS_25InMemoryDataOperationEnumE1ELi2ELNS_10TailNumberE10EEEvNT_8ArgumentE
	.globl	_ZN2ck27kernel_gemm_xdl_cshuffle_v3INS_28GridwiseGemm_xdl_cshuffle_v3INS_13tensor_layout4gemm8RowMajorENS3_11ColumnMajorES4_tNS_7pk_i4_tEfttNS_16tensor_operation12element_wise11PassThroughES9_S9_LNS7_6device18GemmSpecializationE0ELi128ELi16ELi64ELi128ELi8ELi32ELi16ELi16ELi1ELi1ENS_8SequenceIJLi16ELi8ELi1EEEENSC_IJLi1ELi0ELi2EEEESE_Li2ELi8ELi8ELb0ELi0ENSC_IJLi4ELi32ELi1EEEESE_SE_Li2ELi32ELi32ELb0ELi0ELi1ELi1ENSC_IJLi1ELi16ELi1ELi8EEEELi4ELNS_26BlockGemmPipelineSchedulerE1ELNS_24BlockGemmPipelineVersionE1EttLb0ELb1ELb0ELi0ELb0EEELb1ELNS_25InMemoryDataOperationEnumE1ELi2ELNS_10TailNumberE10EEEvNT_8ArgumentE
	.p2align	8
	.type	_ZN2ck27kernel_gemm_xdl_cshuffle_v3INS_28GridwiseGemm_xdl_cshuffle_v3INS_13tensor_layout4gemm8RowMajorENS3_11ColumnMajorES4_tNS_7pk_i4_tEfttNS_16tensor_operation12element_wise11PassThroughES9_S9_LNS7_6device18GemmSpecializationE0ELi128ELi16ELi64ELi128ELi8ELi32ELi16ELi16ELi1ELi1ENS_8SequenceIJLi16ELi8ELi1EEEENSC_IJLi1ELi0ELi2EEEESE_Li2ELi8ELi8ELb0ELi0ENSC_IJLi4ELi32ELi1EEEESE_SE_Li2ELi32ELi32ELb0ELi0ELi1ELi1ENSC_IJLi1ELi16ELi1ELi8EEEELi4ELNS_26BlockGemmPipelineSchedulerE1ELNS_24BlockGemmPipelineVersionE1EttLb0ELb1ELb0ELi0ELb0EEELb1ELNS_25InMemoryDataOperationEnumE1ELi2ELNS_10TailNumberE10EEEvNT_8ArgumentE,@function
_ZN2ck27kernel_gemm_xdl_cshuffle_v3INS_28GridwiseGemm_xdl_cshuffle_v3INS_13tensor_layout4gemm8RowMajorENS3_11ColumnMajorES4_tNS_7pk_i4_tEfttNS_16tensor_operation12element_wise11PassThroughES9_S9_LNS7_6device18GemmSpecializationE0ELi128ELi16ELi64ELi128ELi8ELi32ELi16ELi16ELi1ELi1ENS_8SequenceIJLi16ELi8ELi1EEEENSC_IJLi1ELi0ELi2EEEESE_Li2ELi8ELi8ELb0ELi0ENSC_IJLi4ELi32ELi1EEEESE_SE_Li2ELi32ELi32ELb0ELi0ELi1ELi1ENSC_IJLi1ELi16ELi1ELi8EEEELi4ELNS_26BlockGemmPipelineSchedulerE1ELNS_24BlockGemmPipelineVersionE1EttLb0ELb1ELb0ELi0ELb0EEELb1ELNS_25InMemoryDataOperationEnumE1ELi2ELNS_10TailNumberE10EEEvNT_8ArgumentE: ; @_ZN2ck27kernel_gemm_xdl_cshuffle_v3INS_28GridwiseGemm_xdl_cshuffle_v3INS_13tensor_layout4gemm8RowMajorENS3_11ColumnMajorES4_tNS_7pk_i4_tEfttNS_16tensor_operation12element_wise11PassThroughES9_S9_LNS7_6device18GemmSpecializationE0ELi128ELi16ELi64ELi128ELi8ELi32ELi16ELi16ELi1ELi1ENS_8SequenceIJLi16ELi8ELi1EEEENSC_IJLi1ELi0ELi2EEEESE_Li2ELi8ELi8ELb0ELi0ENSC_IJLi4ELi32ELi1EEEESE_SE_Li2ELi32ELi32ELb0ELi0ELi1ELi1ENSC_IJLi1ELi16ELi1ELi8EEEELi4ELNS_26BlockGemmPipelineSchedulerE1ELNS_24BlockGemmPipelineVersionE1EttLb0ELb1ELb0ELi0ELb0EEELb1ELNS_25InMemoryDataOperationEnumE1ELi2ELNS_10TailNumberE10EEEvNT_8ArgumentE
; %bb.0:
	s_endpgm
	.section	.rodata,"a",@progbits
	.p2align	6, 0x0
	.amdhsa_kernel _ZN2ck27kernel_gemm_xdl_cshuffle_v3INS_28GridwiseGemm_xdl_cshuffle_v3INS_13tensor_layout4gemm8RowMajorENS3_11ColumnMajorES4_tNS_7pk_i4_tEfttNS_16tensor_operation12element_wise11PassThroughES9_S9_LNS7_6device18GemmSpecializationE0ELi128ELi16ELi64ELi128ELi8ELi32ELi16ELi16ELi1ELi1ENS_8SequenceIJLi16ELi8ELi1EEEENSC_IJLi1ELi0ELi2EEEESE_Li2ELi8ELi8ELb0ELi0ENSC_IJLi4ELi32ELi1EEEESE_SE_Li2ELi32ELi32ELb0ELi0ELi1ELi1ENSC_IJLi1ELi16ELi1ELi8EEEELi4ELNS_26BlockGemmPipelineSchedulerE1ELNS_24BlockGemmPipelineVersionE1EttLb0ELb1ELb0ELi0ELb0EEELb1ELNS_25InMemoryDataOperationEnumE1ELi2ELNS_10TailNumberE10EEEvNT_8ArgumentE
		.amdhsa_group_segment_fixed_size 0
		.amdhsa_private_segment_fixed_size 0
		.amdhsa_kernarg_size 112
		.amdhsa_user_sgpr_count 15
		.amdhsa_user_sgpr_dispatch_ptr 0
		.amdhsa_user_sgpr_queue_ptr 0
		.amdhsa_user_sgpr_kernarg_segment_ptr 1
		.amdhsa_user_sgpr_dispatch_id 0
		.amdhsa_user_sgpr_private_segment_size 0
		.amdhsa_wavefront_size32 1
		.amdhsa_uses_dynamic_stack 0
		.amdhsa_enable_private_segment 0
		.amdhsa_system_sgpr_workgroup_id_x 1
		.amdhsa_system_sgpr_workgroup_id_y 0
		.amdhsa_system_sgpr_workgroup_id_z 0
		.amdhsa_system_sgpr_workgroup_info 0
		.amdhsa_system_vgpr_workitem_id 0
		.amdhsa_next_free_vgpr 1
		.amdhsa_next_free_sgpr 1
		.amdhsa_reserve_vcc 0
		.amdhsa_float_round_mode_32 0
		.amdhsa_float_round_mode_16_64 0
		.amdhsa_float_denorm_mode_32 3
		.amdhsa_float_denorm_mode_16_64 3
		.amdhsa_dx10_clamp 1
		.amdhsa_ieee_mode 1
		.amdhsa_fp16_overflow 0
		.amdhsa_workgroup_processor_mode 1
		.amdhsa_memory_ordered 1
		.amdhsa_forward_progress 0
		.amdhsa_shared_vgpr_count 0
		.amdhsa_exception_fp_ieee_invalid_op 0
		.amdhsa_exception_fp_denorm_src 0
		.amdhsa_exception_fp_ieee_div_zero 0
		.amdhsa_exception_fp_ieee_overflow 0
		.amdhsa_exception_fp_ieee_underflow 0
		.amdhsa_exception_fp_ieee_inexact 0
		.amdhsa_exception_int_div_zero 0
	.end_amdhsa_kernel
	.section	.text._ZN2ck27kernel_gemm_xdl_cshuffle_v3INS_28GridwiseGemm_xdl_cshuffle_v3INS_13tensor_layout4gemm8RowMajorENS3_11ColumnMajorES4_tNS_7pk_i4_tEfttNS_16tensor_operation12element_wise11PassThroughES9_S9_LNS7_6device18GemmSpecializationE0ELi128ELi16ELi64ELi128ELi8ELi32ELi16ELi16ELi1ELi1ENS_8SequenceIJLi16ELi8ELi1EEEENSC_IJLi1ELi0ELi2EEEESE_Li2ELi8ELi8ELb0ELi0ENSC_IJLi4ELi32ELi1EEEESE_SE_Li2ELi32ELi32ELb0ELi0ELi1ELi1ENSC_IJLi1ELi16ELi1ELi8EEEELi4ELNS_26BlockGemmPipelineSchedulerE1ELNS_24BlockGemmPipelineVersionE1EttLb0ELb1ELb0ELi0ELb0EEELb1ELNS_25InMemoryDataOperationEnumE1ELi2ELNS_10TailNumberE10EEEvNT_8ArgumentE,"axG",@progbits,_ZN2ck27kernel_gemm_xdl_cshuffle_v3INS_28GridwiseGemm_xdl_cshuffle_v3INS_13tensor_layout4gemm8RowMajorENS3_11ColumnMajorES4_tNS_7pk_i4_tEfttNS_16tensor_operation12element_wise11PassThroughES9_S9_LNS7_6device18GemmSpecializationE0ELi128ELi16ELi64ELi128ELi8ELi32ELi16ELi16ELi1ELi1ENS_8SequenceIJLi16ELi8ELi1EEEENSC_IJLi1ELi0ELi2EEEESE_Li2ELi8ELi8ELb0ELi0ENSC_IJLi4ELi32ELi1EEEESE_SE_Li2ELi32ELi32ELb0ELi0ELi1ELi1ENSC_IJLi1ELi16ELi1ELi8EEEELi4ELNS_26BlockGemmPipelineSchedulerE1ELNS_24BlockGemmPipelineVersionE1EttLb0ELb1ELb0ELi0ELb0EEELb1ELNS_25InMemoryDataOperationEnumE1ELi2ELNS_10TailNumberE10EEEvNT_8ArgumentE,comdat
.Lfunc_end6:
	.size	_ZN2ck27kernel_gemm_xdl_cshuffle_v3INS_28GridwiseGemm_xdl_cshuffle_v3INS_13tensor_layout4gemm8RowMajorENS3_11ColumnMajorES4_tNS_7pk_i4_tEfttNS_16tensor_operation12element_wise11PassThroughES9_S9_LNS7_6device18GemmSpecializationE0ELi128ELi16ELi64ELi128ELi8ELi32ELi16ELi16ELi1ELi1ENS_8SequenceIJLi16ELi8ELi1EEEENSC_IJLi1ELi0ELi2EEEESE_Li2ELi8ELi8ELb0ELi0ENSC_IJLi4ELi32ELi1EEEESE_SE_Li2ELi32ELi32ELb0ELi0ELi1ELi1ENSC_IJLi1ELi16ELi1ELi8EEEELi4ELNS_26BlockGemmPipelineSchedulerE1ELNS_24BlockGemmPipelineVersionE1EttLb0ELb1ELb0ELi0ELb0EEELb1ELNS_25InMemoryDataOperationEnumE1ELi2ELNS_10TailNumberE10EEEvNT_8ArgumentE, .Lfunc_end6-_ZN2ck27kernel_gemm_xdl_cshuffle_v3INS_28GridwiseGemm_xdl_cshuffle_v3INS_13tensor_layout4gemm8RowMajorENS3_11ColumnMajorES4_tNS_7pk_i4_tEfttNS_16tensor_operation12element_wise11PassThroughES9_S9_LNS7_6device18GemmSpecializationE0ELi128ELi16ELi64ELi128ELi8ELi32ELi16ELi16ELi1ELi1ENS_8SequenceIJLi16ELi8ELi1EEEENSC_IJLi1ELi0ELi2EEEESE_Li2ELi8ELi8ELb0ELi0ENSC_IJLi4ELi32ELi1EEEESE_SE_Li2ELi32ELi32ELb0ELi0ELi1ELi1ENSC_IJLi1ELi16ELi1ELi8EEEELi4ELNS_26BlockGemmPipelineSchedulerE1ELNS_24BlockGemmPipelineVersionE1EttLb0ELb1ELb0ELi0ELb0EEELb1ELNS_25InMemoryDataOperationEnumE1ELi2ELNS_10TailNumberE10EEEvNT_8ArgumentE
                                        ; -- End function
	.section	.AMDGPU.csdata,"",@progbits
; Kernel info:
; codeLenInByte = 4
; NumSgprs: 0
; NumVgprs: 0
; ScratchSize: 0
; MemoryBound: 0
; FloatMode: 240
; IeeeMode: 1
; LDSByteSize: 0 bytes/workgroup (compile time only)
; SGPRBlocks: 0
; VGPRBlocks: 0
; NumSGPRsForWavesPerEU: 1
; NumVGPRsForWavesPerEU: 1
; Occupancy: 16
; WaveLimiterHint : 0
; COMPUTE_PGM_RSRC2:SCRATCH_EN: 0
; COMPUTE_PGM_RSRC2:USER_SGPR: 15
; COMPUTE_PGM_RSRC2:TRAP_HANDLER: 0
; COMPUTE_PGM_RSRC2:TGID_X_EN: 1
; COMPUTE_PGM_RSRC2:TGID_Y_EN: 0
; COMPUTE_PGM_RSRC2:TGID_Z_EN: 0
; COMPUTE_PGM_RSRC2:TIDIG_COMP_CNT: 0
	.section	.text._ZN2ck27kernel_gemm_xdl_cshuffle_v3INS_28GridwiseGemm_xdl_cshuffle_v3INS_13tensor_layout4gemm8RowMajorENS3_11ColumnMajorES4_tNS_7pk_i4_tEfttNS_16tensor_operation12element_wise11PassThroughES9_S9_LNS7_6device18GemmSpecializationE0ELi128ELi16ELi64ELi128ELi8ELi32ELi16ELi16ELi1ELi1ENS_8SequenceIJLi16ELi8ELi1EEEENSC_IJLi1ELi0ELi2EEEESE_Li2ELi8ELi8ELb0ELi0ENSC_IJLi4ELi32ELi1EEEESE_SE_Li2ELi32ELi32ELb0ELi0ELi1ELi1ENSC_IJLi1ELi16ELi1ELi8EEEELi4ELNS_26BlockGemmPipelineSchedulerE1ELNS_24BlockGemmPipelineVersionE1EttLb0ELb1ELb0ELi0ELb0EEELb1ELNS_25InMemoryDataOperationEnumE1ELi2ELNS_10TailNumberE3EEEvNT_8ArgumentE,"axG",@progbits,_ZN2ck27kernel_gemm_xdl_cshuffle_v3INS_28GridwiseGemm_xdl_cshuffle_v3INS_13tensor_layout4gemm8RowMajorENS3_11ColumnMajorES4_tNS_7pk_i4_tEfttNS_16tensor_operation12element_wise11PassThroughES9_S9_LNS7_6device18GemmSpecializationE0ELi128ELi16ELi64ELi128ELi8ELi32ELi16ELi16ELi1ELi1ENS_8SequenceIJLi16ELi8ELi1EEEENSC_IJLi1ELi0ELi2EEEESE_Li2ELi8ELi8ELb0ELi0ENSC_IJLi4ELi32ELi1EEEESE_SE_Li2ELi32ELi32ELb0ELi0ELi1ELi1ENSC_IJLi1ELi16ELi1ELi8EEEELi4ELNS_26BlockGemmPipelineSchedulerE1ELNS_24BlockGemmPipelineVersionE1EttLb0ELb1ELb0ELi0ELb0EEELb1ELNS_25InMemoryDataOperationEnumE1ELi2ELNS_10TailNumberE3EEEvNT_8ArgumentE,comdat
	.protected	_ZN2ck27kernel_gemm_xdl_cshuffle_v3INS_28GridwiseGemm_xdl_cshuffle_v3INS_13tensor_layout4gemm8RowMajorENS3_11ColumnMajorES4_tNS_7pk_i4_tEfttNS_16tensor_operation12element_wise11PassThroughES9_S9_LNS7_6device18GemmSpecializationE0ELi128ELi16ELi64ELi128ELi8ELi32ELi16ELi16ELi1ELi1ENS_8SequenceIJLi16ELi8ELi1EEEENSC_IJLi1ELi0ELi2EEEESE_Li2ELi8ELi8ELb0ELi0ENSC_IJLi4ELi32ELi1EEEESE_SE_Li2ELi32ELi32ELb0ELi0ELi1ELi1ENSC_IJLi1ELi16ELi1ELi8EEEELi4ELNS_26BlockGemmPipelineSchedulerE1ELNS_24BlockGemmPipelineVersionE1EttLb0ELb1ELb0ELi0ELb0EEELb1ELNS_25InMemoryDataOperationEnumE1ELi2ELNS_10TailNumberE3EEEvNT_8ArgumentE ; -- Begin function _ZN2ck27kernel_gemm_xdl_cshuffle_v3INS_28GridwiseGemm_xdl_cshuffle_v3INS_13tensor_layout4gemm8RowMajorENS3_11ColumnMajorES4_tNS_7pk_i4_tEfttNS_16tensor_operation12element_wise11PassThroughES9_S9_LNS7_6device18GemmSpecializationE0ELi128ELi16ELi64ELi128ELi8ELi32ELi16ELi16ELi1ELi1ENS_8SequenceIJLi16ELi8ELi1EEEENSC_IJLi1ELi0ELi2EEEESE_Li2ELi8ELi8ELb0ELi0ENSC_IJLi4ELi32ELi1EEEESE_SE_Li2ELi32ELi32ELb0ELi0ELi1ELi1ENSC_IJLi1ELi16ELi1ELi8EEEELi4ELNS_26BlockGemmPipelineSchedulerE1ELNS_24BlockGemmPipelineVersionE1EttLb0ELb1ELb0ELi0ELb0EEELb1ELNS_25InMemoryDataOperationEnumE1ELi2ELNS_10TailNumberE3EEEvNT_8ArgumentE
	.globl	_ZN2ck27kernel_gemm_xdl_cshuffle_v3INS_28GridwiseGemm_xdl_cshuffle_v3INS_13tensor_layout4gemm8RowMajorENS3_11ColumnMajorES4_tNS_7pk_i4_tEfttNS_16tensor_operation12element_wise11PassThroughES9_S9_LNS7_6device18GemmSpecializationE0ELi128ELi16ELi64ELi128ELi8ELi32ELi16ELi16ELi1ELi1ENS_8SequenceIJLi16ELi8ELi1EEEENSC_IJLi1ELi0ELi2EEEESE_Li2ELi8ELi8ELb0ELi0ENSC_IJLi4ELi32ELi1EEEESE_SE_Li2ELi32ELi32ELb0ELi0ELi1ELi1ENSC_IJLi1ELi16ELi1ELi8EEEELi4ELNS_26BlockGemmPipelineSchedulerE1ELNS_24BlockGemmPipelineVersionE1EttLb0ELb1ELb0ELi0ELb0EEELb1ELNS_25InMemoryDataOperationEnumE1ELi2ELNS_10TailNumberE3EEEvNT_8ArgumentE
	.p2align	8
	.type	_ZN2ck27kernel_gemm_xdl_cshuffle_v3INS_28GridwiseGemm_xdl_cshuffle_v3INS_13tensor_layout4gemm8RowMajorENS3_11ColumnMajorES4_tNS_7pk_i4_tEfttNS_16tensor_operation12element_wise11PassThroughES9_S9_LNS7_6device18GemmSpecializationE0ELi128ELi16ELi64ELi128ELi8ELi32ELi16ELi16ELi1ELi1ENS_8SequenceIJLi16ELi8ELi1EEEENSC_IJLi1ELi0ELi2EEEESE_Li2ELi8ELi8ELb0ELi0ENSC_IJLi4ELi32ELi1EEEESE_SE_Li2ELi32ELi32ELb0ELi0ELi1ELi1ENSC_IJLi1ELi16ELi1ELi8EEEELi4ELNS_26BlockGemmPipelineSchedulerE1ELNS_24BlockGemmPipelineVersionE1EttLb0ELb1ELb0ELi0ELb0EEELb1ELNS_25InMemoryDataOperationEnumE1ELi2ELNS_10TailNumberE3EEEvNT_8ArgumentE,@function
_ZN2ck27kernel_gemm_xdl_cshuffle_v3INS_28GridwiseGemm_xdl_cshuffle_v3INS_13tensor_layout4gemm8RowMajorENS3_11ColumnMajorES4_tNS_7pk_i4_tEfttNS_16tensor_operation12element_wise11PassThroughES9_S9_LNS7_6device18GemmSpecializationE0ELi128ELi16ELi64ELi128ELi8ELi32ELi16ELi16ELi1ELi1ENS_8SequenceIJLi16ELi8ELi1EEEENSC_IJLi1ELi0ELi2EEEESE_Li2ELi8ELi8ELb0ELi0ENSC_IJLi4ELi32ELi1EEEESE_SE_Li2ELi32ELi32ELb0ELi0ELi1ELi1ENSC_IJLi1ELi16ELi1ELi8EEEELi4ELNS_26BlockGemmPipelineSchedulerE1ELNS_24BlockGemmPipelineVersionE1EttLb0ELb1ELb0ELi0ELb0EEELb1ELNS_25InMemoryDataOperationEnumE1ELi2ELNS_10TailNumberE3EEEvNT_8ArgumentE: ; @_ZN2ck27kernel_gemm_xdl_cshuffle_v3INS_28GridwiseGemm_xdl_cshuffle_v3INS_13tensor_layout4gemm8RowMajorENS3_11ColumnMajorES4_tNS_7pk_i4_tEfttNS_16tensor_operation12element_wise11PassThroughES9_S9_LNS7_6device18GemmSpecializationE0ELi128ELi16ELi64ELi128ELi8ELi32ELi16ELi16ELi1ELi1ENS_8SequenceIJLi16ELi8ELi1EEEENSC_IJLi1ELi0ELi2EEEESE_Li2ELi8ELi8ELb0ELi0ENSC_IJLi4ELi32ELi1EEEESE_SE_Li2ELi32ELi32ELb0ELi0ELi1ELi1ENSC_IJLi1ELi16ELi1ELi8EEEELi4ELNS_26BlockGemmPipelineSchedulerE1ELNS_24BlockGemmPipelineVersionE1EttLb0ELb1ELb0ELi0ELb0EEELb1ELNS_25InMemoryDataOperationEnumE1ELi2ELNS_10TailNumberE3EEEvNT_8ArgumentE
; %bb.0:
	s_endpgm
	.section	.rodata,"a",@progbits
	.p2align	6, 0x0
	.amdhsa_kernel _ZN2ck27kernel_gemm_xdl_cshuffle_v3INS_28GridwiseGemm_xdl_cshuffle_v3INS_13tensor_layout4gemm8RowMajorENS3_11ColumnMajorES4_tNS_7pk_i4_tEfttNS_16tensor_operation12element_wise11PassThroughES9_S9_LNS7_6device18GemmSpecializationE0ELi128ELi16ELi64ELi128ELi8ELi32ELi16ELi16ELi1ELi1ENS_8SequenceIJLi16ELi8ELi1EEEENSC_IJLi1ELi0ELi2EEEESE_Li2ELi8ELi8ELb0ELi0ENSC_IJLi4ELi32ELi1EEEESE_SE_Li2ELi32ELi32ELb0ELi0ELi1ELi1ENSC_IJLi1ELi16ELi1ELi8EEEELi4ELNS_26BlockGemmPipelineSchedulerE1ELNS_24BlockGemmPipelineVersionE1EttLb0ELb1ELb0ELi0ELb0EEELb1ELNS_25InMemoryDataOperationEnumE1ELi2ELNS_10TailNumberE3EEEvNT_8ArgumentE
		.amdhsa_group_segment_fixed_size 0
		.amdhsa_private_segment_fixed_size 0
		.amdhsa_kernarg_size 112
		.amdhsa_user_sgpr_count 15
		.amdhsa_user_sgpr_dispatch_ptr 0
		.amdhsa_user_sgpr_queue_ptr 0
		.amdhsa_user_sgpr_kernarg_segment_ptr 1
		.amdhsa_user_sgpr_dispatch_id 0
		.amdhsa_user_sgpr_private_segment_size 0
		.amdhsa_wavefront_size32 1
		.amdhsa_uses_dynamic_stack 0
		.amdhsa_enable_private_segment 0
		.amdhsa_system_sgpr_workgroup_id_x 1
		.amdhsa_system_sgpr_workgroup_id_y 0
		.amdhsa_system_sgpr_workgroup_id_z 0
		.amdhsa_system_sgpr_workgroup_info 0
		.amdhsa_system_vgpr_workitem_id 0
		.amdhsa_next_free_vgpr 1
		.amdhsa_next_free_sgpr 1
		.amdhsa_reserve_vcc 0
		.amdhsa_float_round_mode_32 0
		.amdhsa_float_round_mode_16_64 0
		.amdhsa_float_denorm_mode_32 3
		.amdhsa_float_denorm_mode_16_64 3
		.amdhsa_dx10_clamp 1
		.amdhsa_ieee_mode 1
		.amdhsa_fp16_overflow 0
		.amdhsa_workgroup_processor_mode 1
		.amdhsa_memory_ordered 1
		.amdhsa_forward_progress 0
		.amdhsa_shared_vgpr_count 0
		.amdhsa_exception_fp_ieee_invalid_op 0
		.amdhsa_exception_fp_denorm_src 0
		.amdhsa_exception_fp_ieee_div_zero 0
		.amdhsa_exception_fp_ieee_overflow 0
		.amdhsa_exception_fp_ieee_underflow 0
		.amdhsa_exception_fp_ieee_inexact 0
		.amdhsa_exception_int_div_zero 0
	.end_amdhsa_kernel
	.section	.text._ZN2ck27kernel_gemm_xdl_cshuffle_v3INS_28GridwiseGemm_xdl_cshuffle_v3INS_13tensor_layout4gemm8RowMajorENS3_11ColumnMajorES4_tNS_7pk_i4_tEfttNS_16tensor_operation12element_wise11PassThroughES9_S9_LNS7_6device18GemmSpecializationE0ELi128ELi16ELi64ELi128ELi8ELi32ELi16ELi16ELi1ELi1ENS_8SequenceIJLi16ELi8ELi1EEEENSC_IJLi1ELi0ELi2EEEESE_Li2ELi8ELi8ELb0ELi0ENSC_IJLi4ELi32ELi1EEEESE_SE_Li2ELi32ELi32ELb0ELi0ELi1ELi1ENSC_IJLi1ELi16ELi1ELi8EEEELi4ELNS_26BlockGemmPipelineSchedulerE1ELNS_24BlockGemmPipelineVersionE1EttLb0ELb1ELb0ELi0ELb0EEELb1ELNS_25InMemoryDataOperationEnumE1ELi2ELNS_10TailNumberE3EEEvNT_8ArgumentE,"axG",@progbits,_ZN2ck27kernel_gemm_xdl_cshuffle_v3INS_28GridwiseGemm_xdl_cshuffle_v3INS_13tensor_layout4gemm8RowMajorENS3_11ColumnMajorES4_tNS_7pk_i4_tEfttNS_16tensor_operation12element_wise11PassThroughES9_S9_LNS7_6device18GemmSpecializationE0ELi128ELi16ELi64ELi128ELi8ELi32ELi16ELi16ELi1ELi1ENS_8SequenceIJLi16ELi8ELi1EEEENSC_IJLi1ELi0ELi2EEEESE_Li2ELi8ELi8ELb0ELi0ENSC_IJLi4ELi32ELi1EEEESE_SE_Li2ELi32ELi32ELb0ELi0ELi1ELi1ENSC_IJLi1ELi16ELi1ELi8EEEELi4ELNS_26BlockGemmPipelineSchedulerE1ELNS_24BlockGemmPipelineVersionE1EttLb0ELb1ELb0ELi0ELb0EEELb1ELNS_25InMemoryDataOperationEnumE1ELi2ELNS_10TailNumberE3EEEvNT_8ArgumentE,comdat
.Lfunc_end7:
	.size	_ZN2ck27kernel_gemm_xdl_cshuffle_v3INS_28GridwiseGemm_xdl_cshuffle_v3INS_13tensor_layout4gemm8RowMajorENS3_11ColumnMajorES4_tNS_7pk_i4_tEfttNS_16tensor_operation12element_wise11PassThroughES9_S9_LNS7_6device18GemmSpecializationE0ELi128ELi16ELi64ELi128ELi8ELi32ELi16ELi16ELi1ELi1ENS_8SequenceIJLi16ELi8ELi1EEEENSC_IJLi1ELi0ELi2EEEESE_Li2ELi8ELi8ELb0ELi0ENSC_IJLi4ELi32ELi1EEEESE_SE_Li2ELi32ELi32ELb0ELi0ELi1ELi1ENSC_IJLi1ELi16ELi1ELi8EEEELi4ELNS_26BlockGemmPipelineSchedulerE1ELNS_24BlockGemmPipelineVersionE1EttLb0ELb1ELb0ELi0ELb0EEELb1ELNS_25InMemoryDataOperationEnumE1ELi2ELNS_10TailNumberE3EEEvNT_8ArgumentE, .Lfunc_end7-_ZN2ck27kernel_gemm_xdl_cshuffle_v3INS_28GridwiseGemm_xdl_cshuffle_v3INS_13tensor_layout4gemm8RowMajorENS3_11ColumnMajorES4_tNS_7pk_i4_tEfttNS_16tensor_operation12element_wise11PassThroughES9_S9_LNS7_6device18GemmSpecializationE0ELi128ELi16ELi64ELi128ELi8ELi32ELi16ELi16ELi1ELi1ENS_8SequenceIJLi16ELi8ELi1EEEENSC_IJLi1ELi0ELi2EEEESE_Li2ELi8ELi8ELb0ELi0ENSC_IJLi4ELi32ELi1EEEESE_SE_Li2ELi32ELi32ELb0ELi0ELi1ELi1ENSC_IJLi1ELi16ELi1ELi8EEEELi4ELNS_26BlockGemmPipelineSchedulerE1ELNS_24BlockGemmPipelineVersionE1EttLb0ELb1ELb0ELi0ELb0EEELb1ELNS_25InMemoryDataOperationEnumE1ELi2ELNS_10TailNumberE3EEEvNT_8ArgumentE
                                        ; -- End function
	.section	.AMDGPU.csdata,"",@progbits
; Kernel info:
; codeLenInByte = 4
; NumSgprs: 0
; NumVgprs: 0
; ScratchSize: 0
; MemoryBound: 0
; FloatMode: 240
; IeeeMode: 1
; LDSByteSize: 0 bytes/workgroup (compile time only)
; SGPRBlocks: 0
; VGPRBlocks: 0
; NumSGPRsForWavesPerEU: 1
; NumVGPRsForWavesPerEU: 1
; Occupancy: 16
; WaveLimiterHint : 0
; COMPUTE_PGM_RSRC2:SCRATCH_EN: 0
; COMPUTE_PGM_RSRC2:USER_SGPR: 15
; COMPUTE_PGM_RSRC2:TRAP_HANDLER: 0
; COMPUTE_PGM_RSRC2:TGID_X_EN: 1
; COMPUTE_PGM_RSRC2:TGID_Y_EN: 0
; COMPUTE_PGM_RSRC2:TGID_Z_EN: 0
; COMPUTE_PGM_RSRC2:TIDIG_COMP_CNT: 0
	.section	.text._ZN2ck27kernel_gemm_xdl_cshuffle_v3INS_28GridwiseGemm_xdl_cshuffle_v3INS_13tensor_layout4gemm8RowMajorENS3_11ColumnMajorES4_tNS_7pk_i4_tEfttNS_16tensor_operation12element_wise11PassThroughES9_S9_LNS7_6device18GemmSpecializationE0ELi128ELi16ELi64ELi128ELi8ELi32ELi16ELi16ELi1ELi1ENS_8SequenceIJLi16ELi8ELi1EEEENSC_IJLi1ELi0ELi2EEEESE_Li2ELi8ELi8ELb0ELi0ENSC_IJLi4ELi32ELi1EEEESE_SE_Li2ELi32ELi32ELb0ELi0ELi1ELi1ENSC_IJLi1ELi16ELi1ELi8EEEELi4ELNS_26BlockGemmPipelineSchedulerE1ELNS_24BlockGemmPipelineVersionE1EttLb0ELb1ELb0ELi0ELb0EEELb1ELNS_25InMemoryDataOperationEnumE0ELi2ELNS_10TailNumberE2EEEvNT_8ArgumentE,"axG",@progbits,_ZN2ck27kernel_gemm_xdl_cshuffle_v3INS_28GridwiseGemm_xdl_cshuffle_v3INS_13tensor_layout4gemm8RowMajorENS3_11ColumnMajorES4_tNS_7pk_i4_tEfttNS_16tensor_operation12element_wise11PassThroughES9_S9_LNS7_6device18GemmSpecializationE0ELi128ELi16ELi64ELi128ELi8ELi32ELi16ELi16ELi1ELi1ENS_8SequenceIJLi16ELi8ELi1EEEENSC_IJLi1ELi0ELi2EEEESE_Li2ELi8ELi8ELb0ELi0ENSC_IJLi4ELi32ELi1EEEESE_SE_Li2ELi32ELi32ELb0ELi0ELi1ELi1ENSC_IJLi1ELi16ELi1ELi8EEEELi4ELNS_26BlockGemmPipelineSchedulerE1ELNS_24BlockGemmPipelineVersionE1EttLb0ELb1ELb0ELi0ELb0EEELb1ELNS_25InMemoryDataOperationEnumE0ELi2ELNS_10TailNumberE2EEEvNT_8ArgumentE,comdat
	.protected	_ZN2ck27kernel_gemm_xdl_cshuffle_v3INS_28GridwiseGemm_xdl_cshuffle_v3INS_13tensor_layout4gemm8RowMajorENS3_11ColumnMajorES4_tNS_7pk_i4_tEfttNS_16tensor_operation12element_wise11PassThroughES9_S9_LNS7_6device18GemmSpecializationE0ELi128ELi16ELi64ELi128ELi8ELi32ELi16ELi16ELi1ELi1ENS_8SequenceIJLi16ELi8ELi1EEEENSC_IJLi1ELi0ELi2EEEESE_Li2ELi8ELi8ELb0ELi0ENSC_IJLi4ELi32ELi1EEEESE_SE_Li2ELi32ELi32ELb0ELi0ELi1ELi1ENSC_IJLi1ELi16ELi1ELi8EEEELi4ELNS_26BlockGemmPipelineSchedulerE1ELNS_24BlockGemmPipelineVersionE1EttLb0ELb1ELb0ELi0ELb0EEELb1ELNS_25InMemoryDataOperationEnumE0ELi2ELNS_10TailNumberE2EEEvNT_8ArgumentE ; -- Begin function _ZN2ck27kernel_gemm_xdl_cshuffle_v3INS_28GridwiseGemm_xdl_cshuffle_v3INS_13tensor_layout4gemm8RowMajorENS3_11ColumnMajorES4_tNS_7pk_i4_tEfttNS_16tensor_operation12element_wise11PassThroughES9_S9_LNS7_6device18GemmSpecializationE0ELi128ELi16ELi64ELi128ELi8ELi32ELi16ELi16ELi1ELi1ENS_8SequenceIJLi16ELi8ELi1EEEENSC_IJLi1ELi0ELi2EEEESE_Li2ELi8ELi8ELb0ELi0ENSC_IJLi4ELi32ELi1EEEESE_SE_Li2ELi32ELi32ELb0ELi0ELi1ELi1ENSC_IJLi1ELi16ELi1ELi8EEEELi4ELNS_26BlockGemmPipelineSchedulerE1ELNS_24BlockGemmPipelineVersionE1EttLb0ELb1ELb0ELi0ELb0EEELb1ELNS_25InMemoryDataOperationEnumE0ELi2ELNS_10TailNumberE2EEEvNT_8ArgumentE
	.globl	_ZN2ck27kernel_gemm_xdl_cshuffle_v3INS_28GridwiseGemm_xdl_cshuffle_v3INS_13tensor_layout4gemm8RowMajorENS3_11ColumnMajorES4_tNS_7pk_i4_tEfttNS_16tensor_operation12element_wise11PassThroughES9_S9_LNS7_6device18GemmSpecializationE0ELi128ELi16ELi64ELi128ELi8ELi32ELi16ELi16ELi1ELi1ENS_8SequenceIJLi16ELi8ELi1EEEENSC_IJLi1ELi0ELi2EEEESE_Li2ELi8ELi8ELb0ELi0ENSC_IJLi4ELi32ELi1EEEESE_SE_Li2ELi32ELi32ELb0ELi0ELi1ELi1ENSC_IJLi1ELi16ELi1ELi8EEEELi4ELNS_26BlockGemmPipelineSchedulerE1ELNS_24BlockGemmPipelineVersionE1EttLb0ELb1ELb0ELi0ELb0EEELb1ELNS_25InMemoryDataOperationEnumE0ELi2ELNS_10TailNumberE2EEEvNT_8ArgumentE
	.p2align	8
	.type	_ZN2ck27kernel_gemm_xdl_cshuffle_v3INS_28GridwiseGemm_xdl_cshuffle_v3INS_13tensor_layout4gemm8RowMajorENS3_11ColumnMajorES4_tNS_7pk_i4_tEfttNS_16tensor_operation12element_wise11PassThroughES9_S9_LNS7_6device18GemmSpecializationE0ELi128ELi16ELi64ELi128ELi8ELi32ELi16ELi16ELi1ELi1ENS_8SequenceIJLi16ELi8ELi1EEEENSC_IJLi1ELi0ELi2EEEESE_Li2ELi8ELi8ELb0ELi0ENSC_IJLi4ELi32ELi1EEEESE_SE_Li2ELi32ELi32ELb0ELi0ELi1ELi1ENSC_IJLi1ELi16ELi1ELi8EEEELi4ELNS_26BlockGemmPipelineSchedulerE1ELNS_24BlockGemmPipelineVersionE1EttLb0ELb1ELb0ELi0ELb0EEELb1ELNS_25InMemoryDataOperationEnumE0ELi2ELNS_10TailNumberE2EEEvNT_8ArgumentE,@function
_ZN2ck27kernel_gemm_xdl_cshuffle_v3INS_28GridwiseGemm_xdl_cshuffle_v3INS_13tensor_layout4gemm8RowMajorENS3_11ColumnMajorES4_tNS_7pk_i4_tEfttNS_16tensor_operation12element_wise11PassThroughES9_S9_LNS7_6device18GemmSpecializationE0ELi128ELi16ELi64ELi128ELi8ELi32ELi16ELi16ELi1ELi1ENS_8SequenceIJLi16ELi8ELi1EEEENSC_IJLi1ELi0ELi2EEEESE_Li2ELi8ELi8ELb0ELi0ENSC_IJLi4ELi32ELi1EEEESE_SE_Li2ELi32ELi32ELb0ELi0ELi1ELi1ENSC_IJLi1ELi16ELi1ELi8EEEELi4ELNS_26BlockGemmPipelineSchedulerE1ELNS_24BlockGemmPipelineVersionE1EttLb0ELb1ELb0ELi0ELb0EEELb1ELNS_25InMemoryDataOperationEnumE0ELi2ELNS_10TailNumberE2EEEvNT_8ArgumentE: ; @_ZN2ck27kernel_gemm_xdl_cshuffle_v3INS_28GridwiseGemm_xdl_cshuffle_v3INS_13tensor_layout4gemm8RowMajorENS3_11ColumnMajorES4_tNS_7pk_i4_tEfttNS_16tensor_operation12element_wise11PassThroughES9_S9_LNS7_6device18GemmSpecializationE0ELi128ELi16ELi64ELi128ELi8ELi32ELi16ELi16ELi1ELi1ENS_8SequenceIJLi16ELi8ELi1EEEENSC_IJLi1ELi0ELi2EEEESE_Li2ELi8ELi8ELb0ELi0ENSC_IJLi4ELi32ELi1EEEESE_SE_Li2ELi32ELi32ELb0ELi0ELi1ELi1ENSC_IJLi1ELi16ELi1ELi8EEEELi4ELNS_26BlockGemmPipelineSchedulerE1ELNS_24BlockGemmPipelineVersionE1EttLb0ELb1ELb0ELi0ELb0EEELb1ELNS_25InMemoryDataOperationEnumE0ELi2ELNS_10TailNumberE2EEEvNT_8ArgumentE
; %bb.0:
	s_clause 0x3
	s_load_b256 s[4:11], s[0:1], 0x10
	s_load_b32 s2, s[0:1], 0x68
	s_load_b64 s[20:21], s[0:1], 0x60
	s_load_b128 s[16:19], s[0:1], 0x50
	s_mov_b64 s[22:23], 0
	s_waitcnt lgkmcnt(0)
	s_cmp_gt_i32 s10, 1
	s_cselect_b32 s3, -1, 0
	s_bitcmp1_b32 s2, 0
	s_cselect_b32 s2, -1, 0
	s_delay_alu instid0(SALU_CYCLE_1) | instskip(NEXT) | instid1(SALU_CYCLE_1)
	s_and_b32 s2, s3, s2
	s_and_not1_b32 vcc_lo, exec_lo, s2
	s_cbranch_vccnz .LBB8_2
; %bb.1:
	s_mul_i32 s2, s4, s15
	s_delay_alu instid0(SALU_CYCLE_1) | instskip(NEXT) | instid1(SALU_CYCLE_1)
	s_mul_i32 s22, s2, s5
	s_ashr_i32 s23, s22, 31
.LBB8_2:
	s_clause 0x1
	s_load_b32 s2, s[0:1], 0x34
	s_load_b32 s25, s[0:1], 0x3c
	s_add_i32 s0, s4, -1
	s_mov_b32 s24, 0
	s_cmp_lt_u32 s0, 16
	s_cbranch_scc1 .LBB8_6
; %bb.3:
	s_add_i32 s0, s5, -1
	s_delay_alu instid0(SALU_CYCLE_1)
	s_cmp_lt_u32 s0, 64
	s_mov_b32 s0, 0
	s_cbranch_scc1 .LBB8_10
; %bb.4:
	s_add_i32 s0, s4, 15
	s_add_i32 s1, s5, 63
	s_ashr_i32 s3, s0, 31
	s_ashr_i32 s11, s1, 31
	s_lshr_b32 s3, s3, 28
	s_lshr_b32 s11, s11, 26
	s_add_i32 s0, s0, s3
	s_add_i32 s3, s1, s11
	s_ashr_i32 s1, s0, 4
	s_ashr_i32 s0, s3, 6
	;; [unrolled: 1-line block ×3, first 2 shown]
	s_mul_i32 s3, s0, s1
	s_delay_alu instid0(SALU_CYCLE_1) | instskip(NEXT) | instid1(SALU_CYCLE_1)
	s_add_i32 s11, s3, 7
	s_ashr_i32 s12, s11, 31
	s_delay_alu instid0(SALU_CYCLE_1) | instskip(NEXT) | instid1(SALU_CYCLE_1)
	s_lshr_b32 s12, s12, 29
	s_add_i32 s27, s11, s12
	s_lshr_b32 s11, s13, 29
	s_and_b32 s12, s27, -8
	s_add_i32 s26, s14, s11
	s_sub_i32 s11, s3, s12
	s_and_b32 s3, s26, -8
	s_add_i32 s11, s11, 8
	s_sub_i32 s12, s14, s3
	s_ashr_i32 s13, s27, 3
	s_cmp_gt_i32 s12, s11
	s_cbranch_scc1 .LBB8_7
; %bb.5:
	s_mul_i32 s3, s13, s12
	s_ashr_i32 s14, s26, 3
	s_cbranch_execz .LBB8_8
	s_branch .LBB8_9
.LBB8_6:
	s_mov_b32 s11, 0
	s_branch .LBB8_11
.LBB8_7:
                                        ; implicit-def: $sgpr3
	s_ashr_i32 s14, s26, 3
.LBB8_8:
	s_add_i32 s3, s13, -1
	s_delay_alu instid0(SALU_CYCLE_1) | instskip(NEXT) | instid1(SALU_CYCLE_1)
	s_mul_i32 s3, s3, s12
	s_add_i32 s3, s11, s3
.LBB8_9:
	s_abs_i32 s11, s0
	s_add_i32 s3, s3, s14
	v_cvt_f32_u32_e32 v1, s11
	s_sub_i32 s13, 0, s11
	s_abs_i32 s14, s3
	s_delay_alu instid0(VALU_DEP_1) | instskip(SKIP_2) | instid1(VALU_DEP_1)
	v_rcp_iflag_f32_e32 v1, v1
	s_waitcnt_depctr 0xfff
	v_mul_f32_e32 v1, 0x4f7ffffe, v1
	v_cvt_u32_f32_e32 v1, v1
	s_delay_alu instid0(VALU_DEP_1) | instskip(NEXT) | instid1(VALU_DEP_1)
	v_readfirstlane_b32 s12, v1
	s_mul_i32 s13, s13, s12
	s_delay_alu instid0(SALU_CYCLE_1) | instskip(NEXT) | instid1(SALU_CYCLE_1)
	s_mul_hi_u32 s13, s12, s13
	s_add_i32 s12, s12, s13
	s_xor_b32 s13, s3, s0
	s_mul_hi_u32 s12, s14, s12
	s_ashr_i32 s13, s13, 31
	s_mul_i32 s26, s12, s11
	s_delay_alu instid0(SALU_CYCLE_1)
	s_sub_i32 s14, s14, s26
	s_add_i32 s26, s12, 1
	s_sub_i32 s27, s14, s11
	s_cmp_ge_u32 s14, s11
	s_cselect_b32 s12, s26, s12
	s_cselect_b32 s14, s27, s14
	s_add_i32 s26, s12, 1
	s_cmp_ge_u32 s14, s11
	s_cselect_b32 s11, s26, s12
	s_lshr_b32 s12, s1, 30
	s_xor_b32 s11, s11, s13
	s_add_i32 s12, s1, s12
	s_sub_i32 s11, s11, s13
	s_and_b32 s12, s12, -4
	s_mul_i32 s13, s11, s0
	s_sub_i32 s1, s1, s12
	s_sub_i32 s3, s3, s13
	s_cmp_ge_i32 s11, s12
	s_cselect_b32 s1, s1, 4
	s_ashr_i32 s13, s11, 31
	s_abs_i32 s12, s1
	s_lshr_b32 s13, s13, 30
	v_cvt_f32_u32_e32 v1, s12
	s_add_i32 s13, s11, s13
	s_sub_i32 s26, 0, s12
	s_and_b32 s13, s13, -4
	s_delay_alu instid0(SALU_CYCLE_1) | instskip(SKIP_2) | instid1(SALU_CYCLE_1)
	s_sub_i32 s13, s11, s13
	v_rcp_iflag_f32_e32 v1, v1
	s_mul_i32 s0, s13, s0
	s_add_i32 s3, s0, s3
	s_waitcnt_depctr 0xfff
	v_mul_f32_e32 v1, 0x4f7ffffe, v1
	s_delay_alu instid0(VALU_DEP_1) | instskip(NEXT) | instid1(VALU_DEP_1)
	v_cvt_u32_f32_e32 v1, v1
	v_readfirstlane_b32 s14, v1
	s_delay_alu instid0(VALU_DEP_1) | instskip(NEXT) | instid1(SALU_CYCLE_1)
	s_mul_i32 s26, s26, s14
	s_mul_hi_u32 s0, s14, s26
	s_abs_i32 s26, s3
	s_add_i32 s14, s14, s0
	s_delay_alu instid0(SALU_CYCLE_1)
	s_mul_hi_u32 s0, s26, s14
	s_xor_b32 s14, s3, s1
	s_mul_i32 s27, s0, s12
	s_ashr_i32 s14, s14, 31
	s_sub_i32 s26, s26, s27
	s_add_i32 s27, s0, 1
	s_sub_i32 s28, s26, s12
	s_cmp_ge_u32 s26, s12
	s_cselect_b32 s0, s27, s0
	s_cselect_b32 s26, s28, s26
	s_add_i32 s27, s0, 1
	s_cmp_ge_u32 s26, s12
	s_cselect_b32 s0, s27, s0
	s_delay_alu instid0(SALU_CYCLE_1) | instskip(NEXT) | instid1(SALU_CYCLE_1)
	s_xor_b32 s0, s0, s14
	s_sub_i32 s0, s0, s14
	s_delay_alu instid0(SALU_CYCLE_1) | instskip(NEXT) | instid1(SALU_CYCLE_1)
	s_mul_i32 s1, s0, s1
	s_sub_i32 s1, s3, s1
	s_delay_alu instid0(SALU_CYCLE_1) | instskip(NEXT) | instid1(SALU_CYCLE_1)
	s_add_i32 s1, s1, s11
	s_sub_i32 s14, s1, s13
.LBB8_10:
	s_delay_alu instid0(SALU_CYCLE_1)
	s_mov_b32 s11, s14
	s_mov_b32 s14, s0
.LBB8_11:
	s_waitcnt lgkmcnt(0)
	s_mul_i32 s0, s2, s15
	v_lshrrev_b32_e32 v33, 3, v0
	s_ashr_i32 s1, s0, 31
	s_mul_i32 s3, s0, s5
	s_lshl_b64 s[0:1], s[0:1], 1
	s_lshr_b32 s3, s3, 1
	s_add_u32 s0, s16, s0
	s_addc_u32 s1, s17, s1
	s_add_u32 s12, s18, s3
	s_addc_u32 s13, s19, 0
	s_add_u32 s16, 0, 0
	s_addc_u32 s17, s4, -1
	s_ashr_i32 s3, s8, 31
	s_add_i32 s10, s10, -1
	s_lshr_b32 s3, s3, 25
	s_mul_i32 s18, s10, s2
	s_add_i32 s3, s8, s3
	s_lshl_b32 s8, s5, 7
	s_ashr_i32 s19, s3, 7
	s_sub_i32 s3, s6, s18
	v_and_b32_e32 v22, 14, v33
	s_cmp_lt_u32 s15, s10
	v_lshrrev_b32_e32 v2, 1, v0
	s_cselect_b32 s2, s2, s3
	s_lshl_b32 s3, s11, 4
	v_and_b32_e32 v3, 3, v0
	v_dual_mov_b32 v92, 3 :: v_dual_add_nc_u32 v1, s3, v22
	v_and_b32_e32 v4, 62, v2
	s_lshl_b32 s6, s14, 6
	v_and_b32_e32 v41, 15, v0
	s_delay_alu instid0(VALU_DEP_3)
	v_mul_lo_u32 v23, v1, s7
	v_lshlrev_b32_e32 v1, 5, v3
	v_add_nc_u32_e32 v4, s6, v4
	s_mul_i32 s10, s17, s7
	s_mov_b32 s3, 0x31004000
	s_add_i32 s2, s2, s10
	s_mul_i32 s10, s5, s19
	v_lshl_or_b32 v1, v4, 7, v1
	v_lshl_add_u32 v5, v41, 3, v23
	s_lshl_b32 s2, s2, 1
	s_mov_b32 s15, s3
	s_lshl_b32 s14, s10, 6
	v_add_nc_u32_e32 v6, 0x80, v1
	v_lshlrev_b32_e32 v4, 1, v5
	v_add_lshl_u32 v10, v5, s7, 1
	v_add_nc_u32_e32 v14, s8, v1
	v_ashrrev_i32_e32 v1, 1, v1
	v_ashrrev_i32_e32 v18, 1, v6
	s_clause 0x1
	buffer_load_b128 v[6:9], v4, s[0:3], 0 offen
	buffer_load_b128 v[10:13], v10, s[0:3], 0 offen
	v_add_nc_u32_e32 v26, 0x80, v5
	v_add_nc_u32_e32 v25, s8, v14
	;; [unrolled: 1-line block ×4, first 2 shown]
	v_ashrrev_i32_e32 v4, 1, v14
	s_clause 0x1
	buffer_load_b128 v[14:17], v1, s[12:15], 0 offen
	buffer_load_b128 v[18:21], v18, s[12:15], 0 offen
	v_add_nc_u32_e32 v27, 0x80, v25
	v_ashrrev_i32_e32 v1, 1, v24
	v_lshlrev_b32_e32 v28, 1, v26
	v_add_lshl_u32 v26, v26, s7, 1
	v_lshlrev_b32_e32 v29, 1, v5
	v_add_lshl_u32 v5, v5, s7, 1
	v_ashrrev_i32_e32 v24, 1, v25
	s_clause 0x1
	buffer_load_b128 v[42:45], v4, s[12:15], 0 offen
	buffer_load_b128 v[116:119], v1, s[12:15], 0 offen
	v_ashrrev_i32_e32 v1, 1, v27
	s_clause 0x3
	buffer_load_b128 v[50:53], v28, s[0:3], 0 offen
	buffer_load_b128 v[46:49], v26, s[0:3], 0 offen
	;; [unrolled: 1-line block ×4, first 2 shown]
	s_clause 0x1
	buffer_load_b128 v[54:57], v24, s[12:15], 0 offen
	buffer_load_b128 v[69:72], v1, s[12:15], 0 offen
	v_lshrrev_b32_e32 v4, 2, v0
	v_mov_b32_e32 v1, 0
	v_or_b32_e32 v102, 1, v33
	v_bfe_u32 v24, v0, 2, 3
	v_lshlrev_b32_e32 v29, 3, v0
	v_bfe_u32 v5, v0, 1, 3
	scratch_store_b32 off, v0, off offset:240 ; 4-byte Folded Spill
	v_and_b32_e32 v26, 1, v0
	v_lshlrev_b32_e32 v27, 1, v3
	v_lshlrev_b32_e32 v28, 8, v4
	v_and_b32_e32 v0, 48, v2
	scratch_store_b32 off, v33, off offset:244 ; 4-byte Folded Spill
	v_mov_b32_e32 v4, v1
	v_xor_b32_e32 v63, v22, v41
	v_lshlrev_b32_e32 v33, 7, v22
	scratch_store_b32 off, v0, off offset:252 ; 4-byte Folded Spill
	v_or_b32_e32 v36, 1, v22
	v_sub_nc_u32_e32 v22, v102, v22
	v_xor_b32_e32 v34, v27, v24
	v_or_b32_e32 v35, v0, v41
	v_or_b32_e32 v27, 1, v27
	;; [unrolled: 1-line block ×3, first 2 shown]
	v_lshlrev_b32_e32 v0, 7, v22
	s_clause 0x1
	scratch_store_b32 off, v41, off offset:148
	scratch_store_b32 off, v29, off offset:248
	v_and_or_b32 v29, v29, 8, v5
	v_xor_b32_e32 v24, v27, v24
	scratch_store_b32 off, v0, off offset:224 ; 4-byte Folded Spill
	v_or_b32_e32 v31, 4, v26
	v_or_b32_e32 v32, 6, v26
	v_lshlrev_b32_e32 v37, 8, v29
	v_xor_b32_e32 v38, 1, v29
	v_xor_b32_e32 v39, 2, v29
	;; [unrolled: 1-line block ×15, first 2 shown]
	v_lshlrev_b32_e32 v2, 4, v41
	v_xor_b32_e32 v36, v36, v41
	v_bfe_u32 v27, v35, 1, 3
	v_lshl_or_b32 v41, v29, 4, v37
	v_sub_nc_u32_e32 v37, v38, v29
	v_sub_nc_u32_e32 v38, v39, v29
	;; [unrolled: 1-line block ×15, first 2 shown]
	v_lshrrev_b32_e32 v35, 1, v35
	v_add_nc_u32_e32 v0, -1, v22
	v_sub_nc_u32_e32 v84, v24, v34
	v_sub_nc_u32_e32 v24, v34, v24
	v_xor_b32_e32 v26, v27, v26
	v_xor_b32_e32 v30, v27, v30
	scratch_store_b32 off, v0, off offset:228 ; 4-byte Folded Spill
	v_xor_b32_e32 v31, v27, v31
	v_xor_b32_e32 v27, v27, v32
	v_lshlrev_b32_e32 v32, 8, v35
	v_lshlrev_b32_e32 v35, 4, v37
	;; [unrolled: 1-line block ×7, first 2 shown]
	scratch_store_b32 off, v0, off offset:236 ; 4-byte Folded Spill
	v_add_nc_u32_e32 v0, v41, v35
	scratch_store_b32 off, v63, off offset:12 ; 4-byte Folded Spill
	v_lshlrev_b32_e32 v73, 4, v74
	v_lshlrev_b32_e32 v74, 4, v75
	;; [unrolled: 1-line block ×3, first 2 shown]
	scratch_store_b32 off, v0, off          ; 4-byte Folded Spill
	v_add_nc_u32_e32 v0, v41, v37
	v_lshlrev_b32_e32 v76, 4, v77
	v_lshlrev_b32_e32 v77, 4, v78
	;; [unrolled: 1-line block ×4, first 2 shown]
	scratch_store_b32 off, v0, off offset:164 ; 4-byte Folded Spill
	v_add_nc_u32_e32 v0, v41, v38
	v_lshlrev_b32_e32 v80, 4, v81
	v_lshlrev_b32_e32 v81, 4, v82
	v_sub_nc_u32_e32 v30, v30, v26
	v_lshlrev_b32_e32 v29, 4, v29
	scratch_store_b32 off, v0, off offset:168 ; 4-byte Folded Spill
	v_add_nc_u32_e32 v0, v41, v39
	v_lshl_or_b32 v32, v26, 5, v32
	v_lshlrev_b32_e32 v24, 5, v30
	v_lshl_or_b32 v28, v34, 5, v28
	v_sub_nc_u32_e32 v31, v31, v26
	scratch_store_b32 off, v0, off offset:172 ; 4-byte Folded Spill
	v_add_nc_u32_e32 v0, v41, v40
	scratch_store_b32 off, v2, off offset:220 ; 4-byte Folded Spill
	v_add_nc_u16 v24, v32, v24
	v_sub_nc_u32_e32 v26, v27, v26
	v_lshlrev_b32_e32 v27, 5, v84
	scratch_store_b32 off, v0, off offset:8 ; 4-byte Folded Spill
	v_add_nc_u32_e32 v0, v41, v73
	v_lshl_or_b32 v33, v63, 3, v33
	v_lshlrev_b32_e32 v26, 5, v26
	v_add_nc_u32_e32 v127, v27, v28
	v_sub_nc_u32_e32 v22, v36, v63
	scratch_store_b32 off, v0, off offset:176 ; 4-byte Folded Spill
	v_add_nc_u32_e32 v0, v41, v74
	v_add_nc_u16 v26, v32, v26
	v_lshlrev_b32_e32 v83, 1, v33
	v_lshlrev_b32_e32 v82, 3, v22
	v_sub_nc_u32_e32 v36, v63, v36
	scratch_store_b32 off, v0, off offset:180 ; 4-byte Folded Spill
	v_add_nc_u32_e32 v0, v41, v75
	v_ashrrev_i16 v26, 1, v26
	v_lshl_add_u32 v22, v22, 4, v83
	s_ashr_i32 s10, s25, 31
	v_lshlrev_b32_e32 v36, 3, v36
	scratch_store_b32 off, v0, off offset:184 ; 4-byte Folded Spill
	v_add_nc_u32_e32 v0, v41, v76
	s_lshr_b32 s10, s10, 28
	v_mov_b32_e32 v2, v1
	s_add_i32 s25, s25, s10
	v_or_b32_e32 v62, 12, v3
	scratch_store_b32 off, v0, off offset:188 ; 4-byte Folded Spill
	v_add_nc_u32_e32 v0, v41, v77
	v_mov_b32_e32 v3, v1
	v_mov_b32_e32 v5, v1
	v_lshrrev_b32_e32 v34, 1, v28
	v_add3_u32 v73, v82, v33, v36
	scratch_store_b32 off, v0, off offset:192 ; 4-byte Folded Spill
	v_add_nc_u32_e32 v0, v41, v78
	v_ashrrev_i32_e32 v28, 1, v127
	scratch_store_b32 off, v0, off offset:196 ; 4-byte Folded Spill
	v_add_nc_u32_e32 v0, v41, v79
	scratch_store_b32 off, v0, off offset:200 ; 4-byte Folded Spill
	v_add_nc_u32_e32 v0, v41, v80
	;; [unrolled: 2-line block ×3, first 2 shown]
	s_clause 0x1
	scratch_store_b32 off, v0, off offset:208
	scratch_store_b32 off, v41, off offset:160
	v_add_nc_u32_e32 v0, v41, v29
	v_add_nc_u32_e32 v29, s7, v23
	v_lshlrev_b32_e32 v41, 1, v23
	v_ashrrev_i16 v23, 1, v24
	s_ashr_i32 s7, s25, 4
	scratch_store_b32 off, v0, off offset:212 ; 4-byte Folded Spill
	v_lshrrev_b32_e32 v0, 1, v32
	v_lshl_add_u32 v100, v29, 1, 0x500
	s_add_i32 s7, s7, -3
	scratch_store_b32 off, v0, off offset:216 ; 4-byte Folded Spill
	v_bfe_i32 v0, v23, 0, 16
	scratch_store_b32 off, v27, off offset:232 ; 4-byte Folded Spill
	v_lshlrev_b32_e32 v27, 5, v31
	scratch_store_b32 off, v0, off offset:4 ; 4-byte Folded Spill
	v_add_nc_u16 v27, v32, v27
	s_delay_alu instid0(VALU_DEP_1) | instskip(NEXT) | instid1(VALU_DEP_1)
	v_ashrrev_i16 v24, 1, v27
	v_bfe_i32 v0, v24, 0, 16
	scratch_store_b32 off, v0, off offset:156 ; 4-byte Folded Spill
	v_bfe_i32 v0, v26, 0, 16
	scratch_store_b32 off, v0, off offset:152 ; 4-byte Folded Spill
	s_waitcnt vmcnt(11)
	ds_store_b128 v83, v[6:9]
	s_waitcnt vmcnt(10)
	ds_store_b128 v22, v[10:13] offset:256
	scratch_load_b32 v125, off, off offset:152 ; 4-byte Folded Reload
	v_dual_mov_b32 v6, v1 :: v_dual_add_nc_u32 v89, s8, v25
	v_mov_b32_e32 v7, v1
	v_mov_b32_e32 v8, v1
	s_waitcnt vmcnt(10)
	ds_store_b128 v34, v[14:17] offset:4096
	s_waitcnt vmcnt(9)
	ds_store_b128 v28, v[18:21] offset:4096
.LBB8_12:                               ; =>This Inner Loop Header: Depth=1
	s_waitcnt vmcnt(4)
	scratch_store_b128 off, v[58:61], off offset:120 ; 16-byte Folded Spill
	s_waitcnt vmcnt(1)
	s_clause 0x3
	scratch_store_b128 off, v[69:72], off offset:104
	scratch_store_b128 off, v[54:57], off offset:88
	scratch_store_b32 off, v41, off offset:20
	scratch_store_b32 off, v62, off offset:16
	s_waitcnt vmcnt(0) lgkmcnt(0)
	s_waitcnt_vscnt null, 0x0
	s_barrier
	s_clause 0x2
	scratch_load_b32 v0, off, off offset:216
	scratch_load_b32 v126, off, off offset:156
	;; [unrolled: 1-line block ×3, first 2 shown]
	s_waitcnt vmcnt(2)
	ds_load_b128 v[9:12], v0 offset:4096
	s_waitcnt lgkmcnt(0)
	v_lshrrev_b32_e32 v83, 4, v9
	v_lshrrev_b32_e32 v84, 8, v9
	;; [unrolled: 1-line block ×3, first 2 shown]
	v_and_or_b32 v86, v9, 15, 0x4b000000
	v_ashrrev_i32_e32 v87, 16, v9
	v_and_or_b32 v83, v83, 15, 0x4b000000
	v_mov_b32_e32 v72, v0
	scratch_load_b32 v0, off, off offset:4  ; 4-byte Folded Reload
	s_waitcnt vmcnt(1)
	ds_load_b128 v[75:78], v124
	v_lshrrev_b32_e32 v88, 4, v10
	v_lshrrev_b32_e32 v90, 8, v10
	;; [unrolled: 1-line block ×3, first 2 shown]
	v_and_or_b32 v151, v10, 15, 0x4b000000
	v_ashrrev_i32_e32 v152, 16, v10
	v_lshrrev_b32_e32 v153, 4, v11
	v_lshrrev_b32_e32 v154, 8, v11
	;; [unrolled: 1-line block ×3, first 2 shown]
	v_and_or_b32 v156, v11, 15, 0x4b000000
	v_ashrrev_i32_e32 v157, 16, v11
	v_lshrrev_b32_e32 v158, 4, v12
	v_and_or_b32 v159, v12, 15, 0x4b000000
	v_lshrrev_b32_e32 v160, 8, v12
	v_lshrrev_b32_e32 v161, 12, v12
	v_ashrrev_i32_e32 v162, 16, v12
	v_and_or_b32 v85, v85, 15, 0x4b000000
	v_lshrrev_b32_e32 v223, 4, v87
	v_lshrrev_b32_e32 v224, 8, v87
	;; [unrolled: 1-line block ×3, first 2 shown]
	v_and_or_b32 v87, v87, 15, 0x4b000000
	v_and_or_b32 v84, v84, 15, 0x4b000000
	;; [unrolled: 1-line block ×5, first 2 shown]
	v_dual_add_f32 v226, 0xcb000008, v151 :: v_dual_add_f32 v231, 0xcb000008, v156
	v_lshrrev_b32_e32 v151, 4, v152
	v_lshrrev_b32_e32 v227, 8, v152
	;; [unrolled: 1-line block ×3, first 2 shown]
	v_and_or_b32 v152, v152, 15, 0x4b000000
	v_and_or_b32 v90, v90, 15, 0x4b000000
	;; [unrolled: 1-line block ×7, first 2 shown]
	v_add_f32_e32 v83, 0xcb000008, v83
	s_delay_alu instid0(VALU_DEP_4) | instskip(NEXT) | instid1(VALU_DEP_3)
	v_dual_add_f32 v159, 0xcb000008, v159 :: v_dual_add_f32 v224, 0xcb000008, v224
	v_dual_add_f32 v227, 0xcb000008, v227 :: v_dual_add_f32 v228, 0xcb000008, v228
	v_add_f32_e32 v85, 0xcb000008, v85
	v_add_f32_e32 v87, 0xcb000008, v87
	v_dual_add_f32 v223, 0xcb000008, v223 :: v_dual_add_f32 v86, 0xcb000008, v86
	v_dual_add_f32 v225, 0xcb000008, v225 :: v_dual_add_f32 v84, 0xcb000008, v84
	v_add_f32_e32 v91, 0xcb000008, v91
	v_add_f32_e32 v229, 0xcb000008, v152
	v_and_or_b32 v152, v154, 15, 0x4b000000
	v_add_f32_e32 v90, 0xcb000008, v90
	v_lshrrev_b32_e32 v154, 12, v157
	s_delay_alu instid0(VALU_DEP_3) | instskip(SKIP_1) | instid1(VALU_DEP_3)
	v_add_f32_e32 v233, 0xcb000008, v152
	v_lshrrev_b32_e32 v152, 8, v157
	v_and_or_b32 v154, v154, 15, 0x4b000000
	s_delay_alu instid0(VALU_DEP_2)
	v_and_or_b32 v152, v152, 15, 0x4b000000
	v_add_f32_e32 v230, 0xcb000008, v151
	v_and_or_b32 v151, v153, 15, 0x4b000000
	v_and_or_b32 v153, v155, 15, 0x4b000000
	v_and_or_b32 v155, v157, 15, 0x4b000000
	v_add_f32_e32 v237, 0xcb000008, v152
	v_and_or_b32 v152, v160, 15, 0x4b000000
	s_delay_alu instid0(VALU_DEP_3)
	v_dual_add_f32 v88, 0xcb000008, v88 :: v_dual_add_f32 v235, 0xcb000008, v155
	v_and_or_b32 v155, v162, 15, 0x4b000000
	v_add_f32_e32 v160, 0xcb000008, v154
	v_lshrrev_b32_e32 v154, 12, v162
	v_add_f32_e32 v238, 0xcb000008, v152
	v_lshrrev_b32_e32 v152, 8, v162
	v_add_f32_e32 v239, 0xcb000008, v155
	s_delay_alu instid0(VALU_DEP_2) | instskip(SKIP_2) | instid1(VALU_DEP_3)
	v_and_or_b32 v152, v152, 15, 0x4b000000
	v_add_f32_e32 v232, 0xcb000008, v151
	v_lshrrev_b32_e32 v151, 4, v157
	v_add_f32_e32 v241, 0xcb000008, v152
	s_delay_alu instid0(VALU_DEP_2) | instskip(NEXT) | instid1(VALU_DEP_1)
	v_and_or_b32 v151, v151, 15, 0x4b000000
	v_add_f32_e32 v236, 0xcb000008, v151
	v_and_or_b32 v151, v158, 15, 0x4b000000
	v_add_f32_e32 v234, 0xcb000008, v153
	v_and_or_b32 v153, v161, 15, 0x4b000000
	s_delay_alu instid0(VALU_DEP_3) | instskip(SKIP_1) | instid1(VALU_DEP_3)
	v_add_f32_e32 v161, 0xcb000008, v151
	v_lshrrev_b32_e32 v151, 4, v162
	v_add_f32_e32 v162, 0xcb000008, v153
	v_and_or_b32 v153, v154, 15, 0x4b000000
	s_delay_alu instid0(VALU_DEP_3) | instskip(NEXT) | instid1(VALU_DEP_1)
	v_and_or_b32 v151, v151, 15, 0x4b000000
	v_add_f32_e32 v240, 0xcb000008, v151
	s_waitcnt vmcnt(0)
	ds_load_b128 v[9:12], v0 offset:4096
	scratch_load_b32 v0, off, off           ; 4-byte Folded Reload
	ds_load_b128 v[13:16], v126 offset:4096
	s_waitcnt lgkmcnt(1)
	v_lshrrev_b32_e32 v163, 4, v9
	v_lshrrev_b32_e32 v164, 8, v9
	v_lshrrev_b32_e32 v165, 12, v9
	v_and_or_b32 v166, v9, 15, 0x4b000000
	v_ashrrev_i32_e32 v167, 16, v9
	v_lshrrev_b32_e32 v168, 4, v10
	v_lshrrev_b32_e32 v169, 8, v10
	v_lshrrev_b32_e32 v170, 12, v10
	v_and_or_b32 v171, v10, 15, 0x4b000000
	v_ashrrev_i32_e32 v172, 16, v10
	;; [unrolled: 5-line block ×4, first 2 shown]
	s_waitcnt vmcnt(0)
	ds_load_b128 v[79:82], v0
	ds_load_b128 v[9:12], v125 offset:4096
	s_clause 0x4
	scratch_load_b32 v0, off, off offset:236
	scratch_load_b32 v61, off, off offset:188
	;; [unrolled: 1-line block ×5, first 2 shown]
	v_and_or_b32 v152, v164, 15, 0x4b000000
	v_and_or_b32 v155, v167, 15, 0x4b000000
	;; [unrolled: 1-line block ×3, first 2 shown]
	v_dual_add_f32 v164, 0xcb000008, v166 :: v_dual_add_f32 v163, 0xcb000008, v153
	v_and_or_b32 v153, v165, 15, 0x4b000000
	s_delay_alu instid0(VALU_DEP_4)
	v_add_f32_e32 v242, 0xcb000008, v155
	v_and_or_b32 v155, v172, 15, 0x4b000000
	v_add_f32_e32 v166, 0xcb000008, v152
	v_lshrrev_b32_e32 v152, 8, v167
	v_lshrrev_b32_e32 v154, 12, v167
	s_waitcnt lgkmcnt(2)
	v_lshrrev_b32_e32 v184, 8, v13
	v_add_f32_e32 v245, 0xcb000008, v155
	v_and_or_b32 v155, v177, 15, 0x4b000000
	s_waitcnt lgkmcnt(0)
	v_lshrrev_b32_e32 v203, 4, v9
	v_lshrrev_b32_e32 v204, 8, v9
	v_lshrrev_b32_e32 v205, 12, v9
	v_and_or_b32 v206, v9, 15, 0x4b000000
	v_ashrrev_i32_e32 v207, 16, v9
	v_lshrrev_b32_e32 v208, 4, v10
	v_lshrrev_b32_e32 v209, 8, v10
	v_lshrrev_b32_e32 v210, 12, v10
	v_and_or_b32 v211, v10, 15, 0x4b000000
	v_ashrrev_i32_e32 v212, 16, v10
	;; [unrolled: 5-line block ×4, first 2 shown]
	v_and_or_b32 v152, v152, 15, 0x4b000000
	v_add_f32_e32 v248, 0xcb000008, v155
	v_and_or_b32 v155, v182, 15, 0x4b000000
	v_and_or_b32 v186, v13, 15, 0x4b000000
	v_ashrrev_i32_e32 v187, 16, v13
	v_add_f32_e32 v244, 0xcb000008, v152
	v_and_or_b32 v152, v169, 15, 0x4b000000
	v_add_f32_e32 v169, 0xcb000008, v171
	v_lshrrev_b32_e32 v183, 4, v13
	v_and_or_b32 v191, v14, 15, 0x4b000000
	v_lshrrev_b32_e32 v185, 12, v13
	v_add_f32_e32 v171, 0xcb000008, v152
	v_lshrrev_b32_e32 v152, 8, v172
	v_lshrrev_b32_e32 v189, 8, v14
	;; [unrolled: 1-line block ×3, first 2 shown]
	v_ashrrev_i32_e32 v192, 16, v14
	v_lshrrev_b32_e32 v190, 12, v14
	v_lshrrev_b32_e32 v193, 4, v15
	;; [unrolled: 1-line block ×4, first 2 shown]
	v_and_or_b32 v196, v15, 15, 0x4b000000
	v_ashrrev_i32_e32 v197, 16, v15
	v_and_or_b32 v201, v16, 15, 0x4b000000
	v_lshrrev_b32_e32 v199, 8, v16
	v_lshrrev_b32_e32 v198, 4, v16
	v_lshrrev_b32_e32 v200, 12, v16
	v_ashrrev_i32_e32 v202, 16, v16
	v_add_f32_e32 v165, 0xcb000008, v151
	v_lshrrev_b32_e32 v151, 4, v167
	v_add_f32_e32 v167, 0xcb000008, v153
	v_and_or_b32 v153, v154, 15, 0x4b000000
	v_and_or_b32 v152, v152, 15, 0x4b000000
	v_lshrrev_b32_e32 v154, 12, v172
	v_and_or_b32 v151, v151, 15, 0x4b000000
	v_add_f32_e32 v251, 0xcb000008, v155
	v_and_or_b32 v155, v187, 15, 0x4b000000
	v_add_f32_e32 v247, 0xcb000008, v152
	;; [unrolled: 2-line block ×4, first 2 shown]
	v_and_or_b32 v153, v170, 15, 0x4b000000
	s_delay_alu instid0(VALU_DEP_3) | instskip(SKIP_1) | instid1(VALU_DEP_1)
	v_add_f32_e32 v170, 0xcb000008, v151
	v_lshrrev_b32_e32 v151, 4, v172
	v_and_or_b32 v151, v151, 15, 0x4b000000
	s_delay_alu instid0(VALU_DEP_1) | instskip(SKIP_4) | instid1(VALU_DEP_2)
	v_add_f32_e32 v246, 0xcb000008, v151
	v_and_or_b32 v151, v173, 15, 0x4b000000
	v_add_f32_e32 v172, 0xcb000008, v153
	v_and_or_b32 v153, v154, 15, 0x4b000000
	v_lshrrev_b32_e32 v154, 12, v177
	v_add_f32_e32 v173, 0xcb000008, v153
	v_and_or_b32 v153, v175, 15, 0x4b000000
	v_add_f32_e32 v175, 0xcb000008, v151
	v_lshrrev_b32_e32 v151, 4, v177
	s_delay_alu instid0(VALU_DEP_1)
	v_and_or_b32 v151, v151, 15, 0x4b000000
	v_add_f32_e32 v174, 0xcb000008, v176
	v_add_f32_e32 v176, 0xcb000008, v152
	v_lshrrev_b32_e32 v152, 8, v177
	v_add_f32_e32 v177, 0xcb000008, v153
	v_and_or_b32 v153, v154, 15, 0x4b000000
	v_lshrrev_b32_e32 v154, 12, v182
	v_add_f32_e32 v249, 0xcb000008, v151
	v_and_or_b32 v152, v152, 15, 0x4b000000
	v_and_or_b32 v151, v178, 15, 0x4b000000
	s_delay_alu instid0(VALU_DEP_2) | instskip(SKIP_2) | instid1(VALU_DEP_2)
	v_add_f32_e32 v250, 0xcb000008, v152
	v_and_or_b32 v152, v179, 15, 0x4b000000
	v_add_f32_e32 v179, 0xcb000008, v181
	v_add_f32_e32 v181, 0xcb000008, v152
	v_lshrrev_b32_e32 v152, 8, v182
	s_delay_alu instid0(VALU_DEP_1)
	v_and_or_b32 v152, v152, 15, 0x4b000000
	v_add_f32_e32 v178, 0xcb000008, v153
	v_and_or_b32 v153, v180, 15, 0x4b000000
	v_add_f32_e32 v180, 0xcb000008, v151
	v_lshrrev_b32_e32 v151, 4, v182
	v_add_f32_e32 v253, 0xcb000008, v152
	v_and_or_b32 v152, v184, 15, 0x4b000000
	v_add_f32_e32 v184, 0xcb000008, v186
	s_delay_alu instid0(VALU_DEP_4) | instskip(NEXT) | instid1(VALU_DEP_3)
	v_and_or_b32 v151, v151, 15, 0x4b000000
	v_add_f32_e32 v186, 0xcb000008, v152
	v_lshrrev_b32_e32 v152, 8, v187
	s_delay_alu instid0(VALU_DEP_1) | instskip(NEXT) | instid1(VALU_DEP_4)
	v_and_or_b32 v152, v152, 15, 0x4b000000
	v_add_f32_e32 v252, 0xcb000008, v151
	v_and_or_b32 v151, v183, 15, 0x4b000000
	v_add_f32_e32 v182, 0xcb000008, v153
	v_and_or_b32 v153, v154, 15, 0x4b000000
	v_lshrrev_b32_e32 v154, 12, v187
	v_add_f32_e32 v95, 0xcb000008, v152
	v_and_or_b32 v152, v189, 15, 0x4b000000
	s_delay_alu instid0(VALU_DEP_4)
	v_dual_add_f32 v254, 0xcb000008, v155 :: v_dual_add_f32 v183, 0xcb000008, v153
	v_and_or_b32 v153, v185, 15, 0x4b000000
	v_add_f32_e32 v185, 0xcb000008, v151
	v_lshrrev_b32_e32 v151, 4, v187
	v_add_f32_e32 v189, 0xcb000008, v191
	v_add_f32_e32 v191, 0xcb000008, v152
	;; [unrolled: 1-line block ×3, first 2 shown]
	v_and_or_b32 v153, v154, 15, 0x4b000000
	v_and_or_b32 v151, v151, 15, 0x4b000000
	v_lshrrev_b32_e32 v152, 8, v192
	v_lshrrev_b32_e32 v154, 12, v192
	v_and_or_b32 v155, v192, 15, 0x4b000000
	s_delay_alu instid0(VALU_DEP_4) | instskip(SKIP_4) | instid1(VALU_DEP_4)
	v_add_f32_e32 v255, 0xcb000008, v151
	v_and_or_b32 v151, v188, 15, 0x4b000000
	v_add_f32_e32 v188, 0xcb000008, v153
	v_and_or_b32 v153, v190, 15, 0x4b000000
	v_and_or_b32 v152, v152, 15, 0x4b000000
	v_add_f32_e32 v190, 0xcb000008, v151
	v_lshrrev_b32_e32 v151, 4, v192
	s_delay_alu instid0(VALU_DEP_3) | instskip(SKIP_1) | instid1(VALU_DEP_3)
	v_add_f32_e32 v105, 0xcb000008, v152
	v_and_or_b32 v152, v194, 15, 0x4b000000
	v_and_or_b32 v151, v151, 15, 0x4b000000
	s_delay_alu instid0(VALU_DEP_1)
	v_add_f32_e32 v93, 0xcb000008, v151
	v_and_or_b32 v151, v193, 15, 0x4b000000
	v_add_f32_e32 v192, 0xcb000008, v153
	v_and_or_b32 v153, v154, 15, 0x4b000000
	;; [unrolled: 2-line block ×3, first 2 shown]
	v_lshrrev_b32_e32 v154, 12, v197
	s_delay_alu instid0(VALU_DEP_4)
	v_add_f32_e32 v193, 0xcb000008, v153
	v_and_or_b32 v153, v195, 15, 0x4b000000
	v_add_f32_e32 v194, 0xcb000008, v196
	v_add_f32_e32 v196, 0xcb000008, v152
	v_lshrrev_b32_e32 v152, 8, v197
	v_add_f32_e32 v195, 0xcb000008, v151
	v_lshrrev_b32_e32 v151, 4, v197
	v_and_or_b32 v154, v154, 15, 0x4b000000
	v_add_f32_e32 v197, 0xcb000008, v153
	v_and_or_b32 v152, v152, 15, 0x4b000000
	v_and_or_b32 v153, v200, 15, 0x4b000000
	;; [unrolled: 1-line block ×3, first 2 shown]
	s_delay_alu instid0(VALU_DEP_3) | instskip(SKIP_1) | instid1(VALU_DEP_3)
	v_add_f32_e32 v123, 0xcb000008, v152
	v_and_or_b32 v152, v199, 15, 0x4b000000
	v_dual_add_f32 v199, 0xcb000008, v201 :: v_dual_add_f32 v106, 0xcb000008, v151
	v_and_or_b32 v151, v198, 15, 0x4b000000
	s_delay_alu instid0(VALU_DEP_3) | instskip(SKIP_1) | instid1(VALU_DEP_3)
	v_add_f32_e32 v201, 0xcb000008, v152
	v_lshrrev_b32_e32 v152, 8, v202
	v_add_f32_e32 v200, 0xcb000008, v151
	v_lshrrev_b32_e32 v151, 4, v202
	s_delay_alu instid0(VALU_DEP_3) | instskip(SKIP_2) | instid1(VALU_DEP_4)
	v_and_or_b32 v152, v152, 15, 0x4b000000
	v_add_f32_e32 v198, 0xcb000008, v154
	v_lshrrev_b32_e32 v154, 12, v202
	v_and_or_b32 v151, v151, 15, 0x4b000000
	s_delay_alu instid0(VALU_DEP_4) | instskip(SKIP_2) | instid1(VALU_DEP_2)
	v_add_f32_e32 v103, 0xcb000008, v152
	v_and_or_b32 v152, v204, 15, 0x4b000000
	v_add_f32_e32 v204, 0xcb000008, v206
	v_add_f32_e32 v206, 0xcb000008, v152
	v_lshrrev_b32_e32 v152, 8, v207
	s_delay_alu instid0(VALU_DEP_1) | instskip(SKIP_2) | instid1(VALU_DEP_3)
	v_and_or_b32 v152, v152, 15, 0x4b000000
	v_add_f32_e32 v94, 0xcb000008, v151
	v_and_or_b32 v151, v203, 15, 0x4b000000
	v_add_f32_e32 v99, 0xcb000008, v152
	;; [unrolled: 2-line block ×3, first 2 shown]
	s_delay_alu instid0(VALU_DEP_2) | instskip(SKIP_1) | instid1(VALU_DEP_1)
	v_add_f32_e32 v211, 0xcb000008, v152
	v_lshrrev_b32_e32 v152, 8, v212
	v_and_or_b32 v152, v152, 15, 0x4b000000
	s_waitcnt vmcnt(4)
	v_add_nc_u32_e32 v74, v127, v0
	scratch_load_b32 v0, off, off offset:164 ; 4-byte Folded Reload
	s_waitcnt vmcnt(4)
	ds_load_b128 v[37:40], v61
	s_waitcnt vmcnt(3)
	ds_load_b128 v[21:24], v57
	;; [unrolled: 2-line block ×5, first 2 shown]
	v_mov_b32_e32 v104, v0
	scratch_load_b32 v0, off, off offset:168 ; 4-byte Folded Reload
	s_waitcnt vmcnt(0)
	ds_load_b128 v[131:134], v0
	v_mov_b32_e32 v120, v0
	scratch_load_b32 v0, off, off offset:172 ; 4-byte Folded Reload
	s_waitcnt vmcnt(0)
	ds_load_b128 v[135:138], v0
	v_mov_b32_e32 v121, v0
	scratch_load_b32 v0, off, off offset:8  ; 4-byte Folded Reload
	s_waitcnt vmcnt(0)
	ds_load_b128 v[139:142], v0
	scratch_load_b32 v0, off, off offset:176 ; 4-byte Folded Reload
	s_waitcnt vmcnt(0)
	ds_load_b128 v[143:146], v0
	v_mov_b32_e32 v58, v0
	scratch_load_b32 v0, off, off offset:180 ; 4-byte Folded Reload
	s_waitcnt vmcnt(0)
	ds_load_b128 v[147:150], v0
	v_mov_b32_e32 v59, v0
	;; [unrolled: 4-line block ×5, first 2 shown]
	scratch_load_b32 v0, off, off offset:212 ; 4-byte Folded Reload
	s_waitcnt vmcnt(0)
	v_mov_b32_e32 v70, v0
	ds_load_b128 v[13:16], v0
	v_add_f32_e32 v0, 0xcb000008, v155
	v_and_or_b32 v155, v202, 15, 0x4b000000
	v_add_f32_e32 v202, 0xcb000008, v153
	v_and_or_b32 v153, v154, 15, 0x4b000000
	v_lshrrev_b32_e32 v154, 12, v207
	s_delay_alu instid0(VALU_DEP_2)
	v_add_f32_e32 v203, 0xcb000008, v153
	v_and_or_b32 v153, v205, 15, 0x4b000000
	v_add_f32_e32 v205, 0xcb000008, v151
	v_lshrrev_b32_e32 v151, 4, v207
	v_add_f32_e32 v122, 0xcb000008, v155
	v_and_or_b32 v155, v207, 15, 0x4b000000
	v_add_f32_e32 v207, 0xcb000008, v153
	v_and_or_b32 v153, v154, 15, 0x4b000000
	v_and_or_b32 v151, v151, 15, 0x4b000000
	v_lshrrev_b32_e32 v154, 12, v212
	v_add_f32_e32 v97, 0xcb000008, v155
	v_and_or_b32 v155, v212, 15, 0x4b000000
	s_delay_alu instid0(VALU_DEP_4) | instskip(SKIP_1) | instid1(VALU_DEP_3)
	v_add_f32_e32 v98, 0xcb000008, v151
	v_and_or_b32 v151, v208, 15, 0x4b000000
	v_dual_add_f32 v208, 0xcb000008, v153 :: v_dual_add_f32 v101, 0xcb000008, v155
	v_and_or_b32 v153, v210, 15, 0x4b000000
	v_and_or_b32 v155, v217, 15, 0x4b000000
	s_delay_alu instid0(VALU_DEP_4) | instskip(SKIP_1) | instid1(VALU_DEP_3)
	v_add_f32_e32 v210, 0xcb000008, v151
	v_lshrrev_b32_e32 v151, 4, v212
	v_add_f32_e32 v109, 0xcb000008, v155
	v_and_or_b32 v155, v222, 15, 0x4b000000
	s_delay_alu instid0(VALU_DEP_3) | instskip(SKIP_3) | instid1(VALU_DEP_4)
	v_and_or_b32 v151, v151, 15, 0x4b000000
	v_add_f32_e32 v212, 0xcb000008, v153
	v_and_or_b32 v153, v154, 15, 0x4b000000
	v_lshrrev_b32_e32 v154, 12, v217
	v_add_f32_e32 v107, 0xcb000008, v151
	v_and_or_b32 v151, v213, 15, 0x4b000000
	v_add_f32_e32 v108, 0xcb000008, v152
	v_and_or_b32 v152, v214, 15, 0x4b000000
	;; [unrolled: 2-line block ×3, first 2 shown]
	v_dual_add_f32 v215, 0xcb000008, v151 :: v_dual_add_f32 v214, 0xcb000008, v216
	s_delay_alu instid0(VALU_DEP_4)
	v_add_f32_e32 v216, 0xcb000008, v152
	v_lshrrev_b32_e32 v151, 4, v217
	v_lshrrev_b32_e32 v152, 8, v217
	v_add_f32_e32 v217, 0xcb000008, v153
	v_and_or_b32 v153, v154, 15, 0x4b000000
	v_lshrrev_b32_e32 v154, 12, v222
	v_and_or_b32 v151, v151, 15, 0x4b000000
	v_and_or_b32 v152, v152, 15, 0x4b000000
	s_delay_alu instid0(VALU_DEP_3) | instskip(SKIP_1) | instid1(VALU_DEP_3)
	v_and_or_b32 v154, v154, 15, 0x4b000000
	v_add_f32_e32 v112, 0xcb000008, v155
	v_dual_add_f32 v110, 0xcb000008, v151 :: v_dual_add_f32 v111, 0xcb000008, v152
	v_and_or_b32 v151, v218, 15, 0x4b000000
	v_and_or_b32 v152, v219, 15, 0x4b000000
	v_add_f32_e32 v218, 0xcb000008, v153
	v_and_or_b32 v153, v220, 15, 0x4b000000
	s_delay_alu instid0(VALU_DEP_4) | instskip(NEXT) | instid1(VALU_DEP_4)
	v_dual_add_f32 v219, 0xcb000008, v221 :: v_dual_add_f32 v220, 0xcb000008, v151
	v_add_f32_e32 v221, 0xcb000008, v152
	v_lshrrev_b32_e32 v151, 4, v222
	v_lshrrev_b32_e32 v152, 8, v222
	v_add_f32_e32 v115, 0xcb000008, v154
	s_delay_alu instid0(VALU_DEP_3) | instskip(NEXT) | instid1(VALU_DEP_3)
	v_and_or_b32 v151, v151, 15, 0x4b000000
	v_and_or_b32 v152, v152, 15, 0x4b000000
	s_delay_alu instid0(VALU_DEP_2) | instskip(NEXT) | instid1(VALU_DEP_2)
	v_dual_add_f32 v222, 0xcb000008, v153 :: v_dual_add_f32 v113, 0xcb000008, v151
	v_add_f32_e32 v114, 0xcb000008, v152
	; sched_barrier mask(0x00000000)
	s_waitcnt lgkmcnt(0)
	s_barrier
	; sched_barrier mask(0x00000000)
	v_perm_b32 v151, v86, v83, 0x7060302
	v_perm_b32 v152, v84, v85, 0x7060302
	;; [unrolled: 1-line block ×8, first 2 shown]
	s_delay_alu instid0(VALU_DEP_1)
	v_wmma_f32_16x16x16_bf16 v[1:8], v[75:82], v[151:158], v[1:8]
	v_perm_b32 v80, v238, v162, 0x7060302
	v_perm_b32 v79, v159, v161, 0x7060302
	;; [unrolled: 1-line block ×8, first 2 shown]
	s_delay_alu instid0(VALU_DEP_1)
	v_wmma_f32_16x16x16_bf16 v[1:8], v[127:134], v[75:82], v[1:8]
	; sched_barrier mask(0x00000000)
	s_setprio 1
	; sched_barrier mask(0x00000000)
	v_perm_b32 v75, v164, v165, 0x7060302
	v_perm_b32 v76, v166, v167, 0x7060302
	;; [unrolled: 1-line block ×16, first 2 shown]
	v_wmma_f32_16x16x16_bf16 v[1:8], v[135:142], v[75:82], v[1:8]
	v_perm_b32 v75, v184, v185, 0x7060302
	v_perm_b32 v76, v186, v187, 0x7060302
	;; [unrolled: 1-line block ×4, first 2 shown]
	v_wmma_f32_16x16x16_bf16 v[1:8], v[143:150], v[127:134], v[1:8]
	v_perm_b32 v79, v189, v190, 0x7060302
	v_perm_b32 v80, v191, v192, 0x7060302
	;; [unrolled: 1-line block ×12, first 2 shown]
	v_wmma_f32_16x16x16_bf16 v[1:8], v[33:40], v[75:82], v[1:8]
	v_perm_b32 v38, v221, v222, 0x7060302
	v_perm_b32 v37, v219, v220, 0x7060302
	;; [unrolled: 1-line block ×4, first 2 shown]
	v_wmma_f32_16x16x16_bf16 v[1:8], v[25:32], v[127:134], v[1:8]
	v_perm_b32 v25, v204, v205, 0x7060302
	v_perm_b32 v26, v206, v207, 0x7060302
	;; [unrolled: 1-line block ×12, first 2 shown]
	; sched_barrier mask(0x00000000)
	s_waitcnt lgkmcnt(0)
	s_barrier
	; sched_barrier mask(0x00000000)
	v_wmma_f32_16x16x16_bf16 v[1:8], v[17:24], v[25:32], v[1:8]
	s_delay_alu instid0(VALU_DEP_1)
	v_wmma_f32_16x16x16_bf16 v[1:8], v[9:16], v[33:40], v[1:8]
	; sched_barrier mask(0x00000000)
	s_setprio 0
	; sched_barrier mask(0x00000000)
	s_clause 0x1
	scratch_load_b32 v18, off, off offset:148
	scratch_load_b32 v9, off, off offset:224
	v_lshlrev_b32_e32 v0, 1, v73
	v_dual_mov_b32 v78, v68 :: v_dual_mov_b32 v77, v67
	s_clause 0x1
	scratch_load_b32 v10, off, off offset:232
	scratch_load_b32 v11, off, off offset:220
	ds_store_b128 v0, v[50:53]
	v_ashrrev_i32_e32 v0, 31, v102
	v_mov_b32_e32 v75, v65
	v_mov_b32_e32 v71, v124
	;; [unrolled: 1-line block ×4, first 2 shown]
	v_lshrrev_b32_e32 v0, 28, v0
	v_mov_b32_e32 v81, v62
	v_dual_mov_b32 v129, v70 :: v_dual_mov_b32 v82, v121
	s_delay_alu instid0(VALU_DEP_3) | instskip(NEXT) | instid1(VALU_DEP_1)
	v_add_nc_u32_e32 v0, v102, v0
	v_and_b32_e32 v0, -16, v0
	s_delay_alu instid0(VALU_DEP_1) | instskip(SKIP_1) | instid1(VALU_DEP_1)
	v_sub_nc_u32_e32 v0, v102, v0
	s_waitcnt vmcnt(3)
	v_xor_b32_e32 v36, v0, v18
	scratch_load_b32 v0, off, off offset:12 ; 4-byte Folded Reload
	s_waitcnt vmcnt(2)
	v_add_nc_u32_e32 v127, v74, v10
	s_waitcnt vmcnt(1)
	v_add_nc_u32_e32 v130, v11, v41
	v_add_nc_u32_e32 v10, 0x80, v89
	s_waitcnt vmcnt(0)
	v_sub_nc_u32_e32 v0, v36, v0
	s_delay_alu instid0(VALU_DEP_1) | instskip(NEXT) | instid1(VALU_DEP_1)
	v_lshlrev_b32_e32 v0, 3, v0
	v_add3_u32 v9, v73, v9, v0
	v_lshrrev_b32_e32 v0, 31, v74
	s_delay_alu instid0(VALU_DEP_1) | instskip(SKIP_1) | instid1(VALU_DEP_2)
	v_dual_mov_b32 v73, v120 :: v_dual_add_nc_u32 v0, v74, v0
	v_mov_b32_e32 v74, v100
	v_ashrrev_i32_e32 v0, 1, v0
	s_delay_alu instid0(VALU_DEP_2) | instskip(SKIP_2) | instid1(VALU_DEP_3)
	v_add_nc_u32_e32 v13, v11, v74
	v_lshrrev_b32_e32 v11, 31, v127
	v_dual_mov_b32 v76, v66 :: v_dual_mov_b32 v67, v61
	v_dual_mov_b32 v79, v0 :: v_dual_mov_b32 v84, v13
	s_delay_alu instid0(VALU_DEP_3)
	v_add_nc_u32_e32 v11, v127, v11
	v_add_nc_u32_e32 v12, 0xfffffe00, v13
	v_dual_mov_b32 v66, v60 :: v_dual_lshlrev_b32 v65, 1, v9
	scratch_store_b32 off, v84, off offset:144 ; 4-byte Folded Spill
	v_ashrrev_i32_e32 v11, 1, v11
	buffer_load_b128 v[19:22], v12, s[0:3], 0 offen
	ds_store_b128 v65, v[46:49]
	ds_store_b128 v0, v[42:45] offset:4096
	v_lshrrev_b32_e32 v0, 31, v89
	ds_store_b128 v11, v[116:119] offset:4096
	v_mov_b32_e32 v80, v11
	v_lshrrev_b32_e32 v11, 31, v10
	v_add_nc_u32_e32 v0, v89, v0
	s_delay_alu instid0(VALU_DEP_2) | instskip(NEXT) | instid1(VALU_DEP_2)
	v_add_nc_u32_e32 v10, v10, v11
	v_ashrrev_i32_e32 v0, 1, v0
	s_delay_alu instid0(VALU_DEP_2)
	v_ashrrev_i32_e32 v10, 1, v10
	s_waitcnt vmcnt(0)
	scratch_store_b128 off, v[19:22], off offset:24 ; 16-byte Folded Spill
	buffer_load_b128 v[19:22], v0, s[12:15], 0 offen
	s_waitcnt vmcnt(0)
	scratch_store_b128 off, v[19:22], off offset:40 ; 16-byte Folded Spill
	buffer_load_b128 v[10:13], v10, s[12:15], 0 offen
	s_waitcnt vmcnt(0)
	scratch_store_b128 off, v[10:13], off offset:56 ; 16-byte Folded Spill
	buffer_load_b128 v[10:13], v130, s[0:3], 0 offen offset:768
	s_waitcnt vmcnt(0)
	scratch_store_b128 off, v[10:13], off offset:72 ; 16-byte Folded Spill
	s_waitcnt lgkmcnt(0)
	s_waitcnt_vscnt null, 0x0
	s_barrier
	ds_load_b128 v[10:13], v72 offset:4096
	ds_load_b128 v[38:41], v124
	scratch_load_b32 v124, off, off offset:4 ; 4-byte Folded Reload
	ds_load_b128 v[14:17], v126 offset:4096
	scratch_load_b32 v126, off, off         ; 4-byte Folded Reload
	s_waitcnt lgkmcnt(2)
	v_and_or_b32 v0, v10, 15, 0x4b000000
	v_lshrrev_b32_e32 v54, 4, v10
	v_lshrrev_b32_e32 v55, 8, v10
	v_lshrrev_b32_e32 v56, 12, v10
	v_ashrrev_i32_e32 v91, 16, v10
	v_and_or_b32 v93, v11, 15, 0x4b000000
	v_lshrrev_b32_e32 v94, 4, v11
	v_lshrrev_b32_e32 v95, 8, v11
	v_lshrrev_b32_e32 v96, 12, v11
	v_ashrrev_i32_e32 v97, 16, v11
	;; [unrolled: 5-line block ×4, first 2 shown]
	s_waitcnt lgkmcnt(0)
	v_and_or_b32 v168, v14, 15, 0x4b000000
	v_lshrrev_b32_e32 v169, 4, v14
	v_lshrrev_b32_e32 v170, 8, v14
	v_lshrrev_b32_e32 v171, 12, v14
	v_ashrrev_i32_e32 v172, 16, v14
	v_and_or_b32 v173, v15, 15, 0x4b000000
	v_lshrrev_b32_e32 v174, 4, v15
	v_lshrrev_b32_e32 v175, 8, v15
	v_lshrrev_b32_e32 v176, 12, v15
	v_ashrrev_i32_e32 v177, 16, v15
	;; [unrolled: 5-line block ×4, first 2 shown]
	v_and_or_b32 v216, v110, 15, 0x4b000000
	v_and_or_b32 v54, v54, 15, 0x4b000000
	;; [unrolled: 1-line block ×4, first 2 shown]
	v_lshrrev_b32_e32 v208, 4, v91
	v_lshrrev_b32_e32 v209, 8, v91
	v_and_or_b32 v210, v97, 15, 0x4b000000
	v_lshrrev_b32_e32 v211, 4, v97
	v_lshrrev_b32_e32 v212, 8, v97
	;; [unrolled: 1-line block ×3, first 2 shown]
	v_and_or_b32 v213, v105, 15, 0x4b000000
	v_lshrrev_b32_e32 v214, 4, v105
	v_lshrrev_b32_e32 v215, 8, v105
	;; [unrolled: 1-line block ×6, first 2 shown]
	v_and_or_b32 v169, v169, 15, 0x4b000000
	v_and_or_b32 v231, v172, 15, 0x4b000000
	v_lshrrev_b32_e32 v232, 4, v172
	v_lshrrev_b32_e32 v233, 8, v172
	v_lshrrev_b32_e32 v172, 12, v172
	v_and_or_b32 v234, v177, 15, 0x4b000000
	v_lshrrev_b32_e32 v235, 4, v177
	v_lshrrev_b32_e32 v236, 8, v177
	v_lshrrev_b32_e32 v177, 12, v177
	;; [unrolled: 4-line block ×4, first 2 shown]
	v_and_or_b32 v94, v94, 15, 0x4b000000
	v_and_or_b32 v95, v95, 15, 0x4b000000
	;; [unrolled: 1-line block ×11, first 2 shown]
	v_dual_add_f32 v168, 0xcb000008, v168 :: v_dual_add_f32 v55, 0xcb000008, v55
	v_and_or_b32 v174, v174, 15, 0x4b000000
	v_and_or_b32 v175, v175, 15, 0x4b000000
	;; [unrolled: 1-line block ×9, first 2 shown]
	v_dual_add_f32 v54, 0xcb000008, v54 :: v_dual_add_f32 v103, 0xcb000008, v103
	v_dual_add_f32 v56, 0xcb000008, v56 :: v_dual_add_f32 v213, 0xcb000008, v213
	v_and_or_b32 v208, v208, 15, 0x4b000000
	v_and_or_b32 v209, v209, 15, 0x4b000000
	;; [unrolled: 1-line block ×15, first 2 shown]
	v_dual_add_f32 v0, 0xcb000008, v0 :: v_dual_add_f32 v173, 0xcb000008, v173
	v_dual_add_f32 v93, 0xcb000008, v93 :: v_dual_add_f32 v98, 0xcb000008, v98
	;; [unrolled: 1-line block ×4, first 2 shown]
	v_add_f32_e32 v109, 0xcb000008, v109
	v_add_f32_e32 v99, 0xcb000008, v99
	;; [unrolled: 1-line block ×4, first 2 shown]
	v_dual_add_f32 v169, 0xcb000008, v169 :: v_dual_add_f32 v170, 0xcb000008, v170
	v_add_f32_e32 v181, 0xcb000008, v181
	v_dual_add_f32 v171, 0xcb000008, v171 :: v_dual_add_f32 v174, 0xcb000008, v174
	v_add_f32_e32 v185, 0xcb000008, v185
	v_add_f32_e32 v175, 0xcb000008, v175
	v_dual_add_f32 v179, 0xcb000008, v179 :: v_dual_add_f32 v208, 0xcb000008, v208
	v_add_f32_e32 v215, 0xcb000008, v215
	;; [unrolled: 3-line block ×3, first 2 shown]
	v_dual_add_f32 v97, 0xcb000008, v97 :: v_dual_add_f32 v214, 0xcb000008, v214
	v_add_f32_e32 v217, 0xcb000008, v217
	v_add_f32_e32 v177, 0xcb000008, v177
	;; [unrolled: 1-line block ×3, first 2 shown]
	s_waitcnt vmcnt(1)
	ds_load_b128 v[10:13], v124 offset:4096
	s_waitcnt lgkmcnt(0)
	v_and_or_b32 v111, v10, 15, 0x4b000000
	v_lshrrev_b32_e32 v112, 4, v10
	v_lshrrev_b32_e32 v113, 8, v10
	v_lshrrev_b32_e32 v114, 12, v10
	v_ashrrev_i32_e32 v115, 16, v10
	v_and_or_b32 v122, v11, 15, 0x4b000000
	v_lshrrev_b32_e32 v123, 4, v11
	v_lshrrev_b32_e32 v155, 8, v11
	v_lshrrev_b32_e32 v156, 12, v11
	v_ashrrev_i32_e32 v157, 16, v11
	;; [unrolled: 5-line block ×4, first 2 shown]
	s_waitcnt vmcnt(0)
	ds_load_b128 v[42:45], v126
	ds_load_b128 v[10:13], v125 offset:4096
	scratch_load_b32 v83, off, off offset:8 ; 4-byte Folded Reload
	ds_load_b128 v[46:49], v104
	ds_load_b128 v[50:53], v120
	;; [unrolled: 1-line block ×3, first 2 shown]
	v_and_or_b32 v112, v112, 15, 0x4b000000
	v_and_or_b32 v155, v155, 15, 0x4b000000
	;; [unrolled: 1-line block ×4, first 2 shown]
	v_lshrrev_b32_e32 v223, 4, v157
	v_lshrrev_b32_e32 v224, 8, v157
	;; [unrolled: 1-line block ×3, first 2 shown]
	v_and_or_b32 v159, v159, 15, 0x4b000000
	v_and_or_b32 v160, v160, 15, 0x4b000000
	v_lshrrev_b32_e32 v226, 4, v162
	v_lshrrev_b32_e32 v227, 8, v162
	v_dual_mov_b32 v100, v57 :: v_dual_add_f32 v225, 0xcb000008, v158
	v_and_or_b32 v114, v114, 15, 0x4b000000
	v_and_or_b32 v219, v115, 15, 0x4b000000
	s_waitcnt lgkmcnt(3)
	v_and_or_b32 v188, v10, 15, 0x4b000000
	v_lshrrev_b32_e32 v189, 4, v10
	v_lshrrev_b32_e32 v190, 8, v10
	;; [unrolled: 1-line block ×3, first 2 shown]
	v_ashrrev_i32_e32 v192, 16, v10
	v_add_nc_u32_e64 v10, 4, s24
	v_and_or_b32 v193, v11, 15, 0x4b000000
	v_lshrrev_b32_e32 v194, 4, v11
	v_lshrrev_b32_e32 v195, 8, v11
	;; [unrolled: 1-line block ×3, first 2 shown]
	scratch_store_b32 off, v10, off offset:136 ; 4-byte Folded Spill
	v_sub_nc_u32_e32 v10, v10, v92
	v_ashrrev_i32_e32 v197, 16, v11
	v_and_or_b32 v198, v12, 15, 0x4b000000
	v_lshrrev_b32_e32 v199, 4, v12
	v_lshrrev_b32_e32 v200, 8, v12
	v_mad_u64_u32 v[33:34], null, v10, s8, v[89:90]
	v_add_nc_u32_e32 v10, -1, v102
	v_lshrrev_b32_e32 v201, 12, v12
	v_ashrrev_i32_e32 v202, 16, v12
	v_and_or_b32 v203, v13, 15, 0x4b000000
	v_lshrrev_b32_e32 v204, 4, v13
	v_ashrrev_i32_e32 v11, 31, v10
	v_lshrrev_b32_e32 v205, 8, v13
	v_lshrrev_b32_e32 v206, 12, v13
	v_ashrrev_i32_e32 v207, 16, v13
	v_and_or_b32 v92, v91, 15, 0x4b000000
	v_lshrrev_b32_e32 v11, 28, v11
	v_lshrrev_b32_e32 v91, 12, v91
	;; [unrolled: 1-line block ×5, first 2 shown]
	v_add_nc_u32_e32 v11, v10, v11
	v_and_or_b32 v161, v161, 15, 0x4b000000
	v_and_or_b32 v158, v162, 15, 0x4b000000
	v_lshrrev_b32_e32 v162, 12, v162
	v_and_or_b32 v165, v165, 15, 0x4b000000
	v_and_b32_e32 v11, -16, v11
	v_and_or_b32 v228, v167, 15, 0x4b000000
	v_lshrrev_b32_e32 v229, 4, v167
	v_lshrrev_b32_e32 v230, 8, v167
	;; [unrolled: 1-line block ×3, first 2 shown]
	v_sub_nc_u32_e32 v10, v10, v11
	v_and_or_b32 v243, v192, 15, 0x4b000000
	v_lshrrev_b32_e32 v244, 4, v192
	v_lshrrev_b32_e32 v245, 8, v192
	;; [unrolled: 1-line block ×3, first 2 shown]
	v_xor_b32_e32 v68, v10, v18
	v_and_or_b32 v246, v197, 15, 0x4b000000
	v_lshrrev_b32_e32 v247, 4, v197
	v_lshrrev_b32_e32 v248, 8, v197
	;; [unrolled: 1-line block ×3, first 2 shown]
	v_sub_nc_u32_e32 v10, v68, v36
	v_and_or_b32 v249, v202, 15, 0x4b000000
	v_lshrrev_b32_e32 v250, 4, v202
	v_lshrrev_b32_e32 v251, 8, v202
	;; [unrolled: 1-line block ×3, first 2 shown]
	v_lshl_add_u32 v10, v10, 3, 0xffffff80
	v_and_or_b32 v252, v207, 15, 0x4b000000
	v_lshrrev_b32_e32 v253, 4, v207
	v_lshrrev_b32_e32 v254, 8, v207
	;; [unrolled: 1-line block ×3, first 2 shown]
	v_add_nc_u32_e32 v9, v10, v9
	v_dual_mov_b32 v85, v10 :: v_dual_add_f32 v216, 0xcb000008, v216
	v_dual_add_f32 v255, 0xcb000008, v155 :: v_dual_add_f32 v112, 0xcb000008, v112
	scratch_store_b32 off, v9, off offset:140 ; 4-byte Folded Spill
	v_dual_add_f32 v116, 0xcb000008, v156 :: v_dual_add_f32 v165, 0xcb000008, v165
	v_and_or_b32 v155, v223, 15, 0x4b000000
	v_and_or_b32 v156, v224, 15, 0x4b000000
	;; [unrolled: 1-line block ×3, first 2 shown]
	v_dual_add_f32 v223, 0xcb000008, v159 :: v_dual_add_f32 v224, 0xcb000008, v160
	v_and_or_b32 v159, v226, 15, 0x4b000000
	v_and_or_b32 v160, v227, 15, 0x4b000000
	v_mov_b32_e32 v89, v58
	v_and_or_b32 v113, v113, 15, 0x4b000000
	v_and_or_b32 v123, v123, 15, 0x4b000000
	;; [unrolled: 1-line block ×17, first 2 shown]
	v_add_f32_e32 v92, 0xcb000008, v92
	v_dual_add_f32 v114, 0xcb000008, v114 :: v_dual_add_f32 v117, 0xcb000008, v161
	v_and_or_b32 v220, v220, 15, 0x4b000000
	v_and_or_b32 v221, v221, 15, 0x4b000000
	;; [unrolled: 1-line block ×3, first 2 shown]
	v_dual_add_f32 v222, 0xcb000008, v222 :: v_dual_add_f32 v227, 0xcb000008, v228
	v_and_or_b32 v161, v162, 15, 0x4b000000
	v_add_f32_e32 v226, 0xcb000008, v158
	v_and_or_b32 v158, v229, 15, 0x4b000000
	v_and_or_b32 v162, v230, 15, 0x4b000000
	;; [unrolled: 1-line block ×5, first 2 shown]
	v_dual_add_f32 v230, 0xcb000008, v231 :: v_dual_add_f32 v233, 0xcb000008, v234
	v_and_or_b32 v231, v235, 15, 0x4b000000
	v_and_or_b32 v232, v236, 15, 0x4b000000
	;; [unrolled: 1-line block ×4, first 2 shown]
	v_dual_add_f32 v236, 0xcb000008, v237 :: v_dual_add_f32 v239, 0xcb000008, v240
	v_and_or_b32 v237, v241, 15, 0x4b000000
	v_and_or_b32 v238, v242, 15, 0x4b000000
	;; [unrolled: 1-line block ×5, first 2 shown]
	v_dual_add_f32 v242, 0xcb000008, v243 :: v_dual_add_f32 v245, 0xcb000008, v246
	v_and_or_b32 v243, v247, 15, 0x4b000000
	v_and_or_b32 v244, v248, 15, 0x4b000000
	;; [unrolled: 1-line block ×6, first 2 shown]
	v_dual_add_f32 v248, 0xcb000008, v249 :: v_dual_add_f32 v251, 0xcb000008, v252
	v_and_or_b32 v249, v253, 15, 0x4b000000
	v_and_or_b32 v250, v254, 15, 0x4b000000
	;; [unrolled: 1-line block ×3, first 2 shown]
	v_dual_add_f32 v254, 0xcb000008, v157 :: v_dual_add_f32 v119, 0xcb000008, v160
	v_dual_add_f32 v118, 0xcb000008, v159 :: v_dual_add_f32 v229, 0xcb000008, v229
	v_mov_b32_e32 v34, v104
	v_mov_b32_e32 v90, v63
	v_dual_mov_b32 v128, v64 :: v_dual_add_f32 v111, 0xcb000008, v111
	v_dual_mov_b32 v88, v69 :: v_dual_add_f32 v163, 0xcb000008, v163
	v_dual_add_f32 v106, 0xcb000008, v106 :: v_dual_add_f32 v193, 0xcb000008, v193
	v_dual_add_f32 v122, 0xcb000008, v122 :: v_dual_add_f32 v203, 0xcb000008, v203
	v_add_f32_e32 v188, 0xcb000008, v188
	v_add_f32_e32 v198, 0xcb000008, v198
	v_dual_add_f32 v96, 0xcb000008, v96 :: v_dual_add_f32 v113, 0xcb000008, v113
	v_dual_add_f32 v210, 0xcb000008, v210 :: v_dual_add_f32 v219, 0xcb000008, v219
	;; [unrolled: 1-line block ×3, first 2 shown]
	v_add_f32_e32 v164, 0xcb000008, v164
	v_add_f32_e32 v166, 0xcb000008, v166
	v_dual_add_f32 v176, 0xcb000008, v176 :: v_dual_add_f32 v189, 0xcb000008, v189
	v_dual_add_f32 v180, 0xcb000008, v180 :: v_dual_add_f32 v191, 0xcb000008, v191
	;; [unrolled: 1-line block ×6, first 2 shown]
	v_add_f32_e32 v196, 0xcb000008, v196
	v_dual_add_f32 v200, 0xcb000008, v200 :: v_dual_add_f32 v91, 0xcb000008, v91
	v_add_f32_e32 v204, 0xcb000008, v204
	v_add_f32_e32 v206, 0xcb000008, v206
	v_dual_add_f32 v218, 0xcb000008, v218 :: v_dual_add_f32 v221, 0xcb000008, v221
	v_dual_add_f32 v110, 0xcb000008, v110 :: v_dual_add_f32 v115, 0xcb000008, v115
	;; [unrolled: 1-line block ×6, first 2 shown]
	v_add_f32_e32 v228, 0xcb000008, v228
	v_dual_add_f32 v172, 0xcb000008, v172 :: v_dual_add_f32 v235, 0xcb000008, v235
	v_dual_add_f32 v232, 0xcb000008, v232 :: v_dual_add_f32 v237, 0xcb000008, v237
	v_add_f32_e32 v234, 0xcb000008, v234
	v_dual_add_f32 v182, 0xcb000008, v182 :: v_dual_add_f32 v241, 0xcb000008, v241
	v_dual_add_f32 v238, 0xcb000008, v238 :: v_dual_add_f32 v243, 0xcb000008, v243
	;; [unrolled: 1-line block ×6, first 2 shown]
	v_add_f32_e32 v202, 0xcb000008, v202
	v_add_f32_e32 v250, 0xcb000008, v250
	s_waitcnt vmcnt(0)
	ds_load_b128 v[135:138], v83
	ds_load_b128 v[139:142], v58
	;; [unrolled: 1-line block ×11, first 2 shown]
	; sched_barrier mask(0x00000000)
	s_waitcnt lgkmcnt(0)
	s_waitcnt_vscnt null, 0x0
	s_barrier
	; sched_barrier mask(0x00000000)
	v_perm_b32 v155, v0, v54, 0x7060302
	v_perm_b32 v156, v55, v56, 0x7060302
	;; [unrolled: 1-line block ×8, first 2 shown]
	s_delay_alu instid0(VALU_DEP_1)
	v_wmma_f32_16x16x16_bf16 v[1:8], v[38:45], v[155:162], v[1:8]
	v_perm_b32 v43, v108, v109, 0x7060302
	v_perm_b32 v42, v106, v107, 0x7060302
	;; [unrolled: 1-line block ×8, first 2 shown]
	s_delay_alu instid0(VALU_DEP_1)
	v_wmma_f32_16x16x16_bf16 v[1:8], v[46:53], v[38:45], v[1:8]
	; sched_barrier mask(0x00000000)
	s_setprio 1
	; sched_barrier mask(0x00000000)
	v_perm_b32 v38, v111, v112, 0x7060302
	v_perm_b32 v39, v113, v114, 0x7060302
	;; [unrolled: 1-line block ×16, first 2 shown]
	v_wmma_f32_16x16x16_bf16 v[1:8], v[131:138], v[38:45], v[1:8]
	v_perm_b32 v38, v168, v169, 0x7060302
	v_perm_b32 v39, v170, v171, 0x7060302
	;; [unrolled: 1-line block ×4, first 2 shown]
	v_wmma_f32_16x16x16_bf16 v[1:8], v[139:146], v[46:53], v[1:8]
	v_perm_b32 v42, v173, v174, 0x7060302
	v_perm_b32 v43, v175, v176, 0x7060302
	;; [unrolled: 1-line block ×12, first 2 shown]
	v_wmma_f32_16x16x16_bf16 v[1:8], v[147:154], v[38:45], v[1:8]
	v_perm_b32 v43, v205, v206, 0x7060302
	v_perm_b32 v42, v203, v204, 0x7060302
	;; [unrolled: 1-line block ×4, first 2 shown]
	v_wmma_f32_16x16x16_bf16 v[1:8], v[25:32], v[46:53], v[1:8]
	v_perm_b32 v45, v250, v207, 0x7060302
	v_perm_b32 v25, v188, v189, 0x7060302
	;; [unrolled: 1-line block ×12, first 2 shown]
	; sched_barrier mask(0x00000000)
	s_waitcnt lgkmcnt(0)
	s_barrier
	; sched_barrier mask(0x00000000)
	v_wmma_f32_16x16x16_bf16 v[1:8], v[17:24], v[25:32], v[1:8]
	s_delay_alu instid0(VALU_DEP_1)
	v_wmma_f32_16x16x16_bf16 v[1:8], v[9:16], v[38:45], v[1:8]
	; sched_barrier mask(0x00000000)
	s_setprio 0
	; sched_barrier mask(0x00000000)
	scratch_load_b128 v[9:12], off, off offset:120 ; 16-byte Folded Reload
	v_dual_mov_b32 v56, v85 :: v_dual_lshlrev_b32 v131, 1, v85
	scratch_store_b32 off, v68, off offset:12 ; 4-byte Folded Spill
	v_add_nc_u32_e64 v132, 5, s24
	v_add_nc_u32_e32 v0, v65, v131
	s_waitcnt vmcnt(0)
	ds_store_b128 v0, v[9:12]
	scratch_load_b128 v[10:13], off, off offset:88 ; 16-byte Folded Reload
	v_sub_nc_u32_e32 v9, v36, v68
	s_delay_alu instid0(VALU_DEP_1) | instskip(NEXT) | instid1(VALU_DEP_1)
	v_lshl_add_u32 v65, v9, 3, 0x80
	v_lshlrev_b32_e32 v54, 1, v65
	s_delay_alu instid0(VALU_DEP_1)
	v_add_nc_u32_e32 v55, v0, v54
	v_add_nc_u32_e32 v0, 0x80, v33
	ds_store_b128 v55, v[75:78]
	v_mov_b32_e32 v76, v79
	v_lshrrev_b32_e32 v9, 31, v0
	v_mov_b32_e32 v75, v80
	s_delay_alu instid0(VALU_DEP_2) | instskip(SKIP_1) | instid1(VALU_DEP_2)
	v_add_nc_u32_e32 v0, v0, v9
	v_lshrrev_b32_e32 v9, 31, v33
	v_ashrrev_i32_e32 v0, 1, v0
	s_delay_alu instid0(VALU_DEP_2) | instskip(NEXT) | instid1(VALU_DEP_1)
	v_add_nc_u32_e32 v9, v33, v9
	v_ashrrev_i32_e32 v9, 1, v9
	s_waitcnt vmcnt(0)
	ds_store_b128 v79, v[10:13] offset:4096
	scratch_load_b128 v[11:14], off, off offset:104 ; 16-byte Folded Reload
	v_add_nc_u32_e32 v10, 0xffffff00, v84
	s_waitcnt vmcnt(0)
	ds_store_b128 v80, v[11:14] offset:4096
	s_clause 0x1
	buffer_load_b128 v[84:87], v9, s[12:15], 0 offen
	buffer_load_b128 v[43:46], v0, s[12:15], 0 offen
	s_clause 0x1
	buffer_load_b128 v[77:80], v10, s[0:3], 0 offen
	buffer_load_b128 v[50:53], v130, s[0:3], 0 offen offset:1024
	s_waitcnt vmcnt(0) lgkmcnt(0)
	s_waitcnt_vscnt null, 0x0
	s_barrier
	ds_load_b128 v[9:12], v72 offset:4096
	ds_load_b128 v[133:136], v71
	s_waitcnt lgkmcnt(1)
	v_lshrrev_b32_e32 v0, 4, v9
	v_lshrrev_b32_e32 v58, 8, v9
	;; [unrolled: 1-line block ×3, first 2 shown]
	v_and_or_b32 v60, v9, 15, 0x4b000000
	v_ashrrev_i32_e32 v61, 16, v9
	v_lshrrev_b32_e32 v62, 4, v10
	v_lshrrev_b32_e32 v63, 8, v10
	;; [unrolled: 1-line block ×3, first 2 shown]
	v_add_f32_e32 v60, 0xcb000008, v60
	v_and_or_b32 v68, v10, 15, 0x4b000000
	v_ashrrev_i32_e32 v69, 16, v10
	v_lshrrev_b32_e32 v70, 4, v11
	v_lshrrev_b32_e32 v71, 8, v11
	v_lshrrev_b32_e32 v72, 12, v11
	v_and_or_b32 v93, v11, 15, 0x4b000000
	v_ashrrev_i32_e32 v94, 16, v11
	v_lshrrev_b32_e32 v95, 4, v12
	v_and_or_b32 v96, v12, 15, 0x4b000000
	v_lshrrev_b32_e32 v97, 8, v12
	v_lshrrev_b32_e32 v98, 12, v12
	v_ashrrev_i32_e32 v99, 16, v12
	ds_load_b128 v[9:12], v124 offset:4096
	ds_load_b128 v[13:16], v35 offset:4096
	v_and_or_b32 v0, v0, 15, 0x4b000000
	v_and_or_b32 v58, v58, 15, 0x4b000000
	;; [unrolled: 1-line block ×3, first 2 shown]
	v_lshrrev_b32_e32 v203, 8, v61
	v_lshrrev_b32_e32 v204, 12, v61
	v_and_or_b32 v62, v62, 15, 0x4b000000
	v_and_or_b32 v64, v64, 15, 0x4b000000
	v_lshrrev_b32_e32 v205, 4, v69
	v_lshrrev_b32_e32 v206, 8, v69
	;; [unrolled: 1-line block ×3, first 2 shown]
	v_and_or_b32 v69, v69, 15, 0x4b000000
	v_and_or_b32 v70, v70, 15, 0x4b000000
	;; [unrolled: 1-line block ×4, first 2 shown]
	v_lshrrev_b32_e32 v208, 4, v94
	v_lshrrev_b32_e32 v209, 8, v94
	;; [unrolled: 1-line block ×4, first 2 shown]
	s_waitcnt lgkmcnt(1)
	v_lshrrev_b32_e32 v101, 4, v9
	v_lshrrev_b32_e32 v103, 8, v9
	v_lshrrev_b32_e32 v104, 12, v9
	v_and_or_b32 v105, v9, 15, 0x4b000000
	v_ashrrev_i32_e32 v106, 16, v9
	v_lshrrev_b32_e32 v107, 4, v10
	v_lshrrev_b32_e32 v108, 8, v10
	v_lshrrev_b32_e32 v109, 12, v10
	v_and_or_b32 v110, v10, 15, 0x4b000000
	v_ashrrev_i32_e32 v111, 16, v10
	;; [unrolled: 5-line block ×4, first 2 shown]
	ds_load_b128 v[137:140], v126
	ds_load_b128 v[9:12], v125 offset:4096
	s_waitcnt lgkmcnt(2)
	v_lshrrev_b32_e32 v165, 12, v13
	v_and_or_b32 v166, v13, 15, 0x4b000000
	v_ashrrev_i32_e32 v167, 16, v13
	v_lshrrev_b32_e32 v168, 4, v14
	v_lshrrev_b32_e32 v170, 12, v14
	v_and_or_b32 v165, v165, 15, 0x4b000000
	v_add_f32_e32 v226, 0xcb000008, v166
	v_lshrrev_b32_e32 v166, 4, v167
	v_lshrrev_b32_e32 v228, 12, v167
	;; [unrolled: 1-line block ×3, first 2 shown]
	v_add_f32_e32 v229, 0xcb000008, v165
	v_and_or_b32 v167, v167, 15, 0x4b000000
	v_and_or_b32 v166, v166, 15, 0x4b000000
	;; [unrolled: 1-line block ×3, first 2 shown]
	v_lshrrev_b32_e32 v169, 8, v14
	v_and_or_b32 v171, v14, 15, 0x4b000000
	v_ashrrev_i32_e32 v172, 16, v14
	s_delay_alu instid0(VALU_DEP_4)
	v_dual_add_f32 v228, 0xcb000008, v167 :: v_dual_add_f32 v231, 0xcb000008, v165
	s_waitcnt lgkmcnt(0)
	v_lshrrev_b32_e32 v183, 4, v9
	v_lshrrev_b32_e32 v184, 8, v9
	;; [unrolled: 1-line block ×3, first 2 shown]
	v_and_or_b32 v186, v9, 15, 0x4b000000
	v_ashrrev_i32_e32 v187, 16, v9
	scratch_load_b32 v9, off, off offset:136 ; 4-byte Folded Reload
	v_and_or_b32 v165, v170, 15, 0x4b000000
	v_add_f32_e32 v230, 0xcb000008, v166
	v_and_or_b32 v166, v168, 15, 0x4b000000
	v_and_or_b32 v167, v169, 15, 0x4b000000
	v_add_f32_e32 v232, 0xcb000008, v171
	v_lshrrev_b32_e32 v173, 4, v15
	v_lshrrev_b32_e32 v168, 12, v172
	v_add_f32_e32 v233, 0xcb000008, v166
	v_lshrrev_b32_e32 v166, 4, v172
	v_lshrrev_b32_e32 v174, 8, v15
	;; [unrolled: 1-line block ×3, first 2 shown]
	v_ashrrev_i32_e32 v177, 16, v15
	v_and_or_b32 v169, v172, 15, 0x4b000000
	v_and_or_b32 v166, v166, 15, 0x4b000000
	v_add_f32_e32 v234, 0xcb000008, v167
	v_lshrrev_b32_e32 v167, 8, v172
	v_add_f32_e32 v235, 0xcb000008, v165
	v_and_or_b32 v165, v168, 15, 0x4b000000
	v_add_f32_e32 v237, 0xcb000008, v166
	v_and_or_b32 v166, v173, 15, 0x4b000000
	v_and_or_b32 v167, v167, 15, 0x4b000000
	;; [unrolled: 1-line block ×3, first 2 shown]
	v_add_f32_e32 v236, 0xcb000008, v169
	v_add_f32_e32 v173, 0xcb000008, v165
	v_and_or_b32 v165, v175, 15, 0x4b000000
	v_dual_add_f32 v175, 0xcb000008, v166 :: v_dual_add_f32 v238, 0xcb000008, v167
	v_and_or_b32 v167, v174, 15, 0x4b000000
	v_lshrrev_b32_e32 v166, 4, v177
	v_lshrrev_b32_e32 v178, 4, v16
	;; [unrolled: 1-line block ×3, first 2 shown]
	v_add_f32_e32 v174, 0xcb000008, v176
	v_lshrrev_b32_e32 v168, 12, v177
	v_and_or_b32 v169, v177, 15, 0x4b000000
	v_add_f32_e32 v176, 0xcb000008, v167
	v_lshrrev_b32_e32 v167, 8, v177
	v_and_or_b32 v166, v166, 15, 0x4b000000
	v_lshrrev_b32_e32 v180, 12, v16
	v_add_f32_e32 v239, 0xcb000008, v169
	v_and_or_b32 v181, v16, 15, 0x4b000000
	v_ashrrev_i32_e32 v182, 16, v16
	v_and_or_b32 v167, v167, 15, 0x4b000000
	v_and_or_b32 v168, v168, 15, 0x4b000000
	v_dual_add_f32 v177, 0xcb000008, v165 :: v_dual_add_f32 v240, 0xcb000008, v166
	v_and_or_b32 v165, v178, 15, 0x4b000000
	s_delay_alu instid0(VALU_DEP_4) | instskip(SKIP_3) | instid1(VALU_DEP_3)
	v_add_f32_e32 v241, 0xcb000008, v167
	v_and_or_b32 v166, v179, 15, 0x4b000000
	v_dual_add_f32 v178, 0xcb000008, v168 :: v_dual_add_f32 v179, 0xcb000008, v181
	v_and_or_b32 v167, v180, 15, 0x4b000000
	v_dual_add_f32 v180, 0xcb000008, v165 :: v_dual_add_f32 v181, 0xcb000008, v166
	v_lshrrev_b32_e32 v165, 4, v182
	v_lshrrev_b32_e32 v166, 8, v182
	;; [unrolled: 1-line block ×3, first 2 shown]
	v_and_or_b32 v169, v182, 15, 0x4b000000
	v_lshrrev_b32_e32 v188, 4, v10
	v_and_or_b32 v165, v165, 15, 0x4b000000
	v_and_or_b32 v166, v166, 15, 0x4b000000
	v_add_f32_e32 v182, 0xcb000008, v167
	v_and_or_b32 v167, v168, 15, 0x4b000000
	v_add_f32_e32 v242, 0xcb000008, v169
	v_add_f32_e32 v243, 0xcb000008, v165
	v_and_or_b32 v165, v183, 15, 0x4b000000
	v_add_f32_e32 v244, 0xcb000008, v166
	v_and_or_b32 v166, v184, 15, 0x4b000000
	;; [unrolled: 2-line block ×3, first 2 shown]
	v_dual_add_f32 v185, 0xcb000008, v165 :: v_dual_add_f32 v184, 0xcb000008, v186
	v_lshrrev_b32_e32 v165, 4, v187
	v_and_or_b32 v169, v187, 15, 0x4b000000
	v_add_f32_e32 v186, 0xcb000008, v166
	v_lshrrev_b32_e32 v166, 8, v187
	v_lshrrev_b32_e32 v189, 8, v10
	;; [unrolled: 1-line block ×3, first 2 shown]
	v_add_f32_e32 v245, 0xcb000008, v169
	v_and_or_b32 v165, v165, 15, 0x4b000000
	v_and_or_b32 v166, v166, 15, 0x4b000000
	v_lshrrev_b32_e32 v190, 12, v10
	v_and_or_b32 v191, v10, 15, 0x4b000000
	v_ashrrev_i32_e32 v192, 16, v10
	v_add_f32_e32 v187, 0xcb000008, v167
	v_and_or_b32 v167, v168, 15, 0x4b000000
	v_dual_add_f32 v246, 0xcb000008, v165 :: v_dual_add_f32 v247, 0xcb000008, v166
	v_and_or_b32 v165, v188, 15, 0x4b000000
	v_and_or_b32 v166, v189, 15, 0x4b000000
	s_delay_alu instid0(VALU_DEP_4) | instskip(SKIP_1) | instid1(VALU_DEP_4)
	v_add_f32_e32 v188, 0xcb000008, v167
	v_and_or_b32 v167, v190, 15, 0x4b000000
	v_dual_add_f32 v189, 0xcb000008, v191 :: v_dual_add_f32 v190, 0xcb000008, v165
	s_delay_alu instid0(VALU_DEP_4)
	v_add_f32_e32 v191, 0xcb000008, v166
	v_lshrrev_b32_e32 v165, 4, v192
	v_lshrrev_b32_e32 v166, 8, v192
	;; [unrolled: 1-line block ×5, first 2 shown]
	v_and_or_b32 v165, v165, 15, 0x4b000000
	v_and_or_b32 v166, v166, 15, 0x4b000000
	v_lshrrev_b32_e32 v195, 12, v11
	v_and_or_b32 v196, v11, 15, 0x4b000000
	v_ashrrev_i32_e32 v197, 16, v11
	v_and_or_b32 v169, v192, 15, 0x4b000000
	v_dual_add_f32 v192, 0xcb000008, v167 :: v_dual_add_f32 v249, 0xcb000008, v165
	v_and_or_b32 v167, v168, 15, 0x4b000000
	v_and_or_b32 v165, v193, 15, 0x4b000000
	v_add_f32_e32 v250, 0xcb000008, v166
	v_and_or_b32 v166, v194, 15, 0x4b000000
	s_delay_alu instid0(VALU_DEP_4)
	v_dual_add_f32 v248, 0xcb000008, v169 :: v_dual_add_f32 v193, 0xcb000008, v167
	v_and_or_b32 v167, v195, 15, 0x4b000000
	v_dual_add_f32 v194, 0xcb000008, v196 :: v_dual_add_f32 v195, 0xcb000008, v165
	v_lshrrev_b32_e32 v165, 4, v197
	v_and_or_b32 v169, v197, 15, 0x4b000000
	v_add_f32_e32 v196, 0xcb000008, v166
	v_lshrrev_b32_e32 v166, 8, v197
	v_lshrrev_b32_e32 v198, 4, v12
	;; [unrolled: 1-line block ×3, first 2 shown]
	v_add_f32_e32 v251, 0xcb000008, v169
	v_lshrrev_b32_e32 v168, 12, v197
	v_and_or_b32 v165, v165, 15, 0x4b000000
	v_and_or_b32 v166, v166, 15, 0x4b000000
	v_lshrrev_b32_e32 v122, 4, v13
	v_lshrrev_b32_e32 v123, 8, v13
	;; [unrolled: 1-line block ×3, first 2 shown]
	v_and_or_b32 v201, v12, 15, 0x4b000000
	v_ashrrev_i32_e32 v202, 16, v12
	v_add_f32_e32 v197, 0xcb000008, v167
	v_and_or_b32 v167, v168, 15, 0x4b000000
	v_dual_add_f32 v252, 0xcb000008, v165 :: v_dual_add_f32 v253, 0xcb000008, v166
	v_and_or_b32 v165, v198, 15, 0x4b000000
	v_and_or_b32 v166, v199, 15, 0x4b000000
	v_lshrrev_b32_e32 v220, 4, v116
	v_dual_add_f32 v198, 0xcb000008, v167 :: v_dual_add_f32 v199, 0xcb000008, v201
	v_and_or_b32 v167, v200, 15, 0x4b000000
	s_delay_alu instid0(VALU_DEP_4)
	v_dual_add_f32 v200, 0xcb000008, v165 :: v_dual_add_f32 v201, 0xcb000008, v166
	v_lshrrev_b32_e32 v166, 8, v202
	v_lshrrev_b32_e32 v168, 12, v202
	;; [unrolled: 1-line block ×12, first 2 shown]
	v_and_or_b32 v116, v116, 15, 0x4b000000
	v_and_or_b32 v220, v220, 15, 0x4b000000
	;; [unrolled: 1-line block ×5, first 2 shown]
	v_lshrrev_b32_e32 v223, 4, v121
	v_lshrrev_b32_e32 v224, 8, v121
	;; [unrolled: 1-line block ×4, first 2 shown]
	v_and_or_b32 v169, v202, 15, 0x4b000000
	v_and_or_b32 v166, v166, 15, 0x4b000000
	;; [unrolled: 1-line block ×4, first 2 shown]
	v_add_f32_e32 v59, 0xcb000008, v59
	v_and_or_b32 v204, v204, 15, 0x4b000000
	v_and_or_b32 v63, v63, 15, 0x4b000000
	v_add_f32_e32 v58, 0xcb000008, v58
	v_dual_add_f32 v62, 0xcb000008, v62 :: v_dual_add_f32 v93, 0xcb000008, v93
	v_and_or_b32 v205, v205, 15, 0x4b000000
	v_and_or_b32 v206, v206, 15, 0x4b000000
	v_dual_add_f32 v64, 0xcb000008, v64 :: v_dual_add_f32 v71, 0xcb000008, v71
	v_and_or_b32 v207, v207, 15, 0x4b000000
	v_add_f32_e32 v68, 0xcb000008, v68
	v_and_or_b32 v94, v94, 15, 0x4b000000
	v_and_or_b32 v208, v208, 15, 0x4b000000
	v_and_or_b32 v209, v209, 15, 0x4b000000
	v_add_f32_e32 v207, 0xcb000008, v207
	v_and_or_b32 v210, v210, 15, 0x4b000000
	v_and_or_b32 v95, v95, 15, 0x4b000000
	v_add_f32_e32 v70, 0xcb000008, v70
	v_and_or_b32 v97, v97, 15, 0x4b000000
	v_add_f32_e32 v72, 0xcb000008, v72
	v_and_or_b32 v98, v98, 15, 0x4b000000
	v_and_or_b32 v99, v99, 15, 0x4b000000
	;; [unrolled: 1-line block ×3, first 2 shown]
	v_add_f32_e32 v97, 0xcb000008, v97
	v_and_or_b32 v212, v212, 15, 0x4b000000
	v_and_or_b32 v213, v213, 15, 0x4b000000
	;; [unrolled: 1-line block ×21, first 2 shown]
	v_dual_add_f32 v116, 0xcb000008, v116 :: v_dual_add_f32 v117, 0xcb000008, v117
	v_dual_add_f32 v220, 0xcb000008, v220 :: v_dual_add_f32 v119, 0xcb000008, v119
	v_and_or_b32 v121, v121, 15, 0x4b000000
	v_and_or_b32 v223, v223, 15, 0x4b000000
	;; [unrolled: 1-line block ×4, first 2 shown]
	v_add_f32_e32 v118, 0xcb000008, v118
	v_and_or_b32 v122, v122, 15, 0x4b000000
	v_and_or_b32 v123, v123, 15, 0x4b000000
	;; [unrolled: 1-line block ×3, first 2 shown]
	v_add_f32_e32 v225, 0xcb000008, v225
	v_and_or_b32 v165, v165, 15, 0x4b000000
	v_dual_add_f32 v254, 0xcb000008, v169 :: v_dual_add_f32 v41, 0xcb000008, v166
	v_dual_add_f32 v42, 0xcb000008, v168 :: v_dual_add_f32 v203, 0xcb000008, v203
	;; [unrolled: 1-line block ×8, first 2 shown]
	v_add_f32_e32 v105, 0xcb000008, v105
	v_dual_add_f32 v95, 0xcb000008, v95 :: v_dual_add_f32 v98, 0xcb000008, v98
	v_dual_add_f32 v101, 0xcb000008, v101 :: v_dual_add_f32 v212, 0xcb000008, v212
	;; [unrolled: 1-line block ×15, first 2 shown]
	v_add_f32_e32 v227, 0xcb000008, v227
	v_dual_add_f32 v202, 0xcb000008, v167 :: v_dual_add_f32 v255, 0xcb000008, v165
	v_add_f32_e32 v69, 0xcb000008, v69
	s_waitcnt vmcnt(0)
	v_sub_nc_u32_e32 v9, v132, v9
	s_delay_alu instid0(VALU_DEP_1)
	v_mad_u64_u32 v[91:92], null, v9, s8, v[33:34]
	scratch_load_b32 v9, off, off offset:140 ; 4-byte Folded Reload
	ds_load_b128 v[141:144], v34
	ds_load_b128 v[145:148], v73
	;; [unrolled: 1-line block ×12, first 2 shown]
	v_lshrrev_b32_e32 v92, 4, v61
	v_and_or_b32 v61, v61, 15, 0x4b000000
	v_add_f32_e32 v0, 0xcb000008, v0
	s_delay_alu instid0(VALU_DEP_3) | instskip(NEXT) | instid1(VALU_DEP_1)
	v_and_or_b32 v92, v92, 15, 0x4b000000
	v_dual_add_f32 v61, 0xcb000008, v61 :: v_dual_add_f32 v92, 0xcb000008, v92
	s_waitcnt vmcnt(0)
	v_add3_u32 v57, v9, v65, v56
	ds_load_b128 v[9:12], v88
	ds_load_b128 v[13:16], v129
	; sched_barrier mask(0x00000000)
	s_waitcnt lgkmcnt(0)
	s_barrier
	; sched_barrier mask(0x00000000)
	v_perm_b32 v169, v68, v62, 0x7060302
	scratch_load_b32 v62, off, off offset:16 ; 4-byte Folded Reload
	v_perm_b32 v165, v60, v0, 0x7060302
	v_perm_b32 v166, v58, v59, 0x7060302
	;; [unrolled: 1-line block ×7, first 2 shown]
	s_delay_alu instid0(VALU_DEP_1)
	v_wmma_f32_16x16x16_bf16 v[1:8], v[133:140], v[165:172], v[1:8]
	v_perm_b32 v138, v97, v98, 0x7060302
	v_perm_b32 v137, v96, v95, 0x7060302
	;; [unrolled: 1-line block ×8, first 2 shown]
	s_delay_alu instid0(VALU_DEP_1)
	v_wmma_f32_16x16x16_bf16 v[1:8], v[141:148], v[133:140], v[1:8]
	; sched_barrier mask(0x00000000)
	s_setprio 1
	; sched_barrier mask(0x00000000)
	v_perm_b32 v133, v105, v101, 0x7060302
	v_perm_b32 v134, v103, v104, 0x7060302
	;; [unrolled: 1-line block ×12, first 2 shown]
	v_wmma_f32_16x16x16_bf16 v[1:8], v[149:156], v[133:140], v[1:8]
	v_perm_b32 v138, v118, v119, 0x7060302
	v_perm_b32 v137, v120, v117, 0x7060302
	;; [unrolled: 1-line block ×12, first 2 shown]
	v_wmma_f32_16x16x16_bf16 v[1:8], v[157:164], v[133:140], v[1:8]
	v_perm_b32 v133, v226, v122, 0x7060302
	v_perm_b32 v134, v123, v229, 0x7060302
	;; [unrolled: 1-line block ×8, first 2 shown]
	v_dual_mov_b32 v119, v46 :: v_dual_mov_b32 v118, v45
	v_dual_mov_b32 v117, v44 :: v_dual_mov_b32 v116, v43
	s_delay_alu instid0(VALU_DEP_3)
	v_wmma_f32_16x16x16_bf16 v[1:8], v[33:40], v[133:140], v[1:8]
	v_perm_b32 v40, v41, v42, 0x7060302
	scratch_load_b32 v41, off, off offset:20 ; 4-byte Folded Reload
	v_dual_mov_b32 v42, v84 :: v_dual_mov_b32 v43, v85
	v_dual_mov_b32 v46, v77 :: v_dual_mov_b32 v47, v78
	v_wmma_f32_16x16x16_bf16 v[1:8], v[25:32], v[141:148], v[1:8]
	v_dual_mov_b32 v44, v86 :: v_dual_mov_b32 v45, v87
	v_dual_mov_b32 v48, v79 :: v_dual_mov_b32 v49, v80
	v_perm_b32 v25, v184, v185, 0x7060302
	v_perm_b32 v26, v186, v187, 0x7060302
	;; [unrolled: 1-line block ×15, first 2 shown]
	; sched_barrier mask(0x00000000)
	s_waitcnt vmcnt(0) lgkmcnt(0)
	s_barrier
	; sched_barrier mask(0x00000000)
	v_wmma_f32_16x16x16_bf16 v[1:8], v[17:24], v[25:32], v[1:8]
	s_delay_alu instid0(VALU_DEP_1)
	v_wmma_f32_16x16x16_bf16 v[1:8], v[9:16], v[33:40], v[1:8]
	; sched_barrier mask(0x00000000)
	s_setprio 0
	; sched_barrier mask(0x00000000)
	scratch_load_b128 v[9:12], off, off offset:72 ; 16-byte Folded Reload
	v_add_nc_u32_e32 v0, v55, v131
	v_add3_u32 v73, v57, v65, v56
	buffer_load_b128 v[58:61], v130, s[0:3], 0 offen offset:1280
	v_add_nc_u32_e32 v62, 12, v62
	v_add_nc_u32_e32 v100, 0x300, v74
	;; [unrolled: 1-line block ×3, first 2 shown]
	s_delay_alu instid0(VALU_DEP_3)
	v_lshrrev_b32_e32 v92, 2, v62
	s_waitcnt vmcnt(1)
	ds_store_b128 v0, v[9:12]
	scratch_load_b128 v[9:12], off, off offset:24 ; 16-byte Folded Reload
	v_add_nc_u32_e32 v0, v0, v54
	s_waitcnt vmcnt(0)
	ds_store_b128 v0, v[9:12]
	s_clause 0x1
	scratch_load_b128 v[9:12], off, off offset:40
	scratch_load_b32 v0, off, off offset:144
	s_waitcnt vmcnt(1)
	ds_store_b128 v76, v[9:12] offset:4096
	scratch_load_b128 v[9:12], off, off offset:56 ; 16-byte Folded Reload
	s_waitcnt vmcnt(1)
	buffer_load_b128 v[65:68], v0, s[0:3], 0 offen
	v_lshrrev_b32_e32 v0, 31, v91
	s_delay_alu instid0(VALU_DEP_1) | instskip(NEXT) | instid1(VALU_DEP_1)
	v_add_nc_u32_e32 v0, v91, v0
	v_ashrrev_i32_e32 v0, 1, v0
	buffer_load_b128 v[54:57], v0, s[12:15], 0 offen
	v_add_nc_u32_e32 v0, 0x80, v91
	s_waitcnt vmcnt(2)
	ds_store_b128 v75, v[9:12] offset:4096
	v_lshrrev_b32_e32 v9, 31, v0
	s_delay_alu instid0(VALU_DEP_1) | instskip(NEXT) | instid1(VALU_DEP_1)
	v_add_nc_u32_e32 v0, v0, v9
	v_ashrrev_i32_e32 v0, 1, v0
	buffer_load_b128 v[69:72], v0, s[12:15], 0 offen
	v_add_nc_u32_e64 v0, 6, s24
	s_add_i32 s24, s24, 3
	s_delay_alu instid0(SALU_CYCLE_1) | instskip(NEXT) | instid1(VALU_DEP_1)
	s_cmp_lt_i32 s24, s7
	v_sub_nc_u32_e32 v0, v0, v132
	s_delay_alu instid0(VALU_DEP_1)
	v_mad_u64_u32 v[89:90], null, v0, s8, v[91:92]
	scratch_load_b32 v0, off, off offset:228 ; 4-byte Folded Reload
	s_waitcnt vmcnt(0)
	v_add_nc_u32_e32 v102, v102, v0
	s_cbranch_scc1 .LBB8_12
; %bb.13:
	s_waitcnt lgkmcnt(0)
	s_barrier
	scratch_load_b32 v0, off, off offset:216 ; 4-byte Folded Reload
	s_lshl_b64 s[0:1], s[22:23], 1
	s_mul_i32 s17, s17, s9
	s_mul_hi_u32 s2, s16, s9
	s_add_u32 s12, s20, s0
	s_addc_u32 s13, s21, s1
	s_add_i32 s2, s2, s17
	s_waitcnt vmcnt(0)
	ds_load_b128 v[69:72], v0 offset:4096
	scratch_load_b32 v0, off, off offset:160 ; 4-byte Folded Reload
	s_waitcnt lgkmcnt(0)
	v_lshrrev_b32_e32 v73, 8, v69
	v_lshrrev_b32_e32 v74, 12, v69
	v_and_or_b32 v75, v69, 15, 0x4b000000
	v_and_or_b32 v82, v70, 15, 0x4b000000
	;; [unrolled: 1-line block ×5, first 2 shown]
	s_waitcnt vmcnt(0)
	ds_load_b128 v[65:68], v0
	scratch_load_b32 v0, off, off offset:164 ; 4-byte Folded Reload
	s_waitcnt vmcnt(0)
	ds_load_b128 v[57:60], v0
	scratch_load_b32 v0, off, off offset:168 ; 4-byte Folded Reload
	;; [unrolled: 3-line block ×3, first 2 shown]
	s_waitcnt vmcnt(0)
	ds_load_b128 v[49:52], v0
	scratch_load_b32 v0, off, off offset:8  ; 4-byte Folded Reload
	s_waitcnt vmcnt(0)
	ds_load_b128 v[53:56], v0
	scratch_load_b32 v0, off, off offset:176 ; 4-byte Folded Reload
	s_waitcnt vmcnt(0)
	ds_load_b128 v[41:44], v0
	scratch_load_b32 v0, off, off offset:180 ; 4-byte Folded Reload
	s_waitcnt vmcnt(0)
	ds_load_b128 v[45:48], v0
	scratch_load_b32 v0, off, off offset:184 ; 4-byte Folded Reload
	s_waitcnt vmcnt(0)
	ds_load_b128 v[33:36], v0
	scratch_load_b32 v0, off, off offset:188 ; 4-byte Folded Reload
	s_waitcnt vmcnt(0)
	ds_load_b128 v[37:40], v0
	scratch_load_b32 v0, off, off offset:192 ; 4-byte Folded Reload
	s_waitcnt vmcnt(0)
	ds_load_b128 v[25:28], v0
	scratch_load_b32 v0, off, off offset:196 ; 4-byte Folded Reload
	s_waitcnt vmcnt(0)
	ds_load_b128 v[29:32], v0
	scratch_load_b32 v0, off, off offset:200 ; 4-byte Folded Reload
	s_waitcnt vmcnt(0)
	ds_load_b128 v[17:20], v0
	scratch_load_b32 v0, off, off offset:204 ; 4-byte Folded Reload
	s_waitcnt vmcnt(0)
	ds_load_b128 v[21:24], v0
	scratch_load_b32 v0, off, off offset:208 ; 4-byte Folded Reload
	s_waitcnt vmcnt(0)
	ds_load_b128 v[9:12], v0
	scratch_load_b32 v0, off, off offset:212 ; 4-byte Folded Reload
	s_waitcnt vmcnt(0)
	ds_load_b128 v[13:16], v0
	v_lshrrev_b32_e32 v0, 4, v69
	v_ashrrev_i32_e32 v69, 16, v69
	s_delay_alu instid0(VALU_DEP_2) | instskip(SKIP_1) | instid1(VALU_DEP_3)
	v_and_or_b32 v0, v0, 15, 0x4b000000
	v_add_f32_e32 v73, 0xcb000008, v75
	v_lshrrev_b32_e32 v78, 8, v69
	v_lshrrev_b32_e32 v79, 12, v69
	v_dual_add_f32 v75, 0xcb000008, v76 :: v_dual_add_f32 v76, 0xcb000008, v77
	v_add_f32_e32 v74, 0xcb000008, v0
	v_lshrrev_b32_e32 v0, 4, v69
	v_and_or_b32 v69, v69, 15, 0x4b000000
	v_and_or_b32 v80, v78, 15, 0x4b000000
	;; [unrolled: 1-line block ×3, first 2 shown]
	s_delay_alu instid0(VALU_DEP_4) | instskip(NEXT) | instid1(VALU_DEP_4)
	v_and_or_b32 v0, v0, 15, 0x4b000000
	v_add_f32_e32 v77, 0xcb000008, v69
	v_lshrrev_b32_e32 v69, 8, v70
	s_delay_alu instid0(VALU_DEP_4) | instskip(NEXT) | instid1(VALU_DEP_4)
	v_dual_add_f32 v79, 0xcb000008, v80 :: v_dual_add_f32 v80, 0xcb000008, v81
	v_add_f32_e32 v78, 0xcb000008, v0
	v_lshrrev_b32_e32 v0, 4, v70
	v_lshrrev_b32_e32 v81, 12, v70
	v_ashrrev_i32_e32 v70, 16, v70
	v_and_or_b32 v69, v69, 15, 0x4b000000
	s_delay_alu instid0(VALU_DEP_4) | instskip(NEXT) | instid1(VALU_DEP_4)
	v_and_or_b32 v0, v0, 15, 0x4b000000
	v_and_or_b32 v84, v81, 15, 0x4b000000
	v_add_f32_e32 v81, 0xcb000008, v82
	v_lshrrev_b32_e32 v85, 8, v70
	s_delay_alu instid0(VALU_DEP_4) | instskip(NEXT) | instid1(VALU_DEP_4)
	v_dual_add_f32 v83, 0xcb000008, v69 :: v_dual_add_f32 v82, 0xcb000008, v0
	v_add_f32_e32 v84, 0xcb000008, v84
	v_lshrrev_b32_e32 v0, 4, v70
	v_lshrrev_b32_e32 v69, 12, v70
	v_and_or_b32 v70, v70, 15, 0x4b000000
	v_and_or_b32 v87, v85, 15, 0x4b000000
	s_delay_alu instid0(VALU_DEP_4) | instskip(NEXT) | instid1(VALU_DEP_4)
	v_and_or_b32 v0, v0, 15, 0x4b000000
	v_and_or_b32 v69, v69, 15, 0x4b000000
	s_delay_alu instid0(VALU_DEP_4) | instskip(NEXT) | instid1(VALU_DEP_4)
	v_add_f32_e32 v85, 0xcb000008, v70
	v_add_f32_e32 v87, 0xcb000008, v87
	v_lshrrev_b32_e32 v70, 12, v71
	v_add_f32_e32 v86, 0xcb000008, v0
	v_add_f32_e32 v88, 0xcb000008, v69
	v_lshrrev_b32_e32 v0, 4, v71
	v_lshrrev_b32_e32 v69, 8, v71
	v_ashrrev_i32_e32 v71, 16, v71
	v_and_or_b32 v70, v70, 15, 0x4b000000
	s_delay_alu instid0(VALU_DEP_4) | instskip(NEXT) | instid1(VALU_DEP_4)
	v_and_or_b32 v0, v0, 15, 0x4b000000
	v_and_or_b32 v69, v69, 15, 0x4b000000
	s_delay_alu instid0(VALU_DEP_4) | instskip(NEXT) | instid1(VALU_DEP_4)
	v_lshrrev_b32_e32 v93, 12, v71
	v_add_f32_e32 v102, 0xcb000008, v70
	v_lshrrev_b32_e32 v70, 8, v72
	v_dual_add_f32 v89, 0xcb000008, v89 :: v_dual_add_f32 v90, 0xcb000008, v0
	v_add_f32_e32 v91, 0xcb000008, v69
	v_and_or_b32 v93, v93, 15, 0x4b000000
	s_delay_alu instid0(VALU_DEP_4) | instskip(SKIP_3) | instid1(VALU_DEP_4)
	v_and_or_b32 v70, v70, 15, 0x4b000000
	v_lshrrev_b32_e32 v0, 4, v71
	v_lshrrev_b32_e32 v92, 8, v71
	v_and_or_b32 v69, v71, 15, 0x4b000000
	v_dual_add_f32 v104, 0xcb000008, v93 :: v_dual_add_f32 v95, 0xcb000008, v70
	scratch_load_b32 v93, off, off offset:4 ; 4-byte Folded Reload
	v_and_or_b32 v0, v0, 15, 0x4b000000
	v_and_or_b32 v71, v92, 15, 0x4b000000
	v_add_f32_e32 v92, 0xcb000008, v69
	v_and_or_b32 v69, v72, 15, 0x4b000000
	s_delay_alu instid0(VALU_DEP_3) | instskip(SKIP_3) | instid1(VALU_DEP_3)
	v_dual_add_f32 v100, 0xcb000008, v0 :: v_dual_add_f32 v103, 0xcb000008, v71
	v_lshrrev_b32_e32 v0, 4, v72
	v_lshrrev_b32_e32 v71, 12, v72
	v_ashrrev_i32_e32 v72, 16, v72
	v_and_or_b32 v0, v0, 15, 0x4b000000
	s_delay_alu instid0(VALU_DEP_3) | instskip(NEXT) | instid1(VALU_DEP_3)
	v_and_or_b32 v71, v71, 15, 0x4b000000
	v_lshrrev_b32_e32 v94, 8, v72
	v_lshrrev_b32_e32 v70, 12, v72
	s_delay_alu instid0(VALU_DEP_2) | instskip(NEXT) | instid1(VALU_DEP_2)
	v_and_or_b32 v94, v94, 15, 0x4b000000
	v_and_or_b32 v70, v70, 15, 0x4b000000
	s_delay_alu instid0(VALU_DEP_1)
	v_dual_add_f32 v0, 0xcb000008, v0 :: v_dual_add_f32 v99, 0xcb000008, v70
	s_waitcnt vmcnt(0)
	ds_load_b128 v[105:108], v93 offset:4096
	v_add_f32_e32 v93, 0xcb000008, v69
	v_lshrrev_b32_e32 v69, 4, v72
	v_and_or_b32 v72, v72, 15, 0x4b000000
	v_add_f32_e32 v96, 0xcb000008, v71
	s_delay_alu instid0(VALU_DEP_3) | instskip(NEXT) | instid1(VALU_DEP_3)
	v_and_or_b32 v69, v69, 15, 0x4b000000
	v_add_f32_e32 v97, 0xcb000008, v72
	s_waitcnt lgkmcnt(0)
	v_and_or_b32 v72, v105, 15, 0x4b000000
	s_delay_alu instid0(VALU_DEP_3)
	v_add_f32_e32 v98, 0xcb000008, v69
	scratch_load_b32 v69, off, off offset:156 ; 4-byte Folded Reload
	v_lshrrev_b32_e32 v70, 8, v105
	v_ashrrev_i32_e32 v101, 16, v105
	v_add_f32_e32 v113, 0xcb000008, v72
	v_lshrrev_b32_e32 v71, 12, v105
	s_delay_alu instid0(VALU_DEP_4) | instskip(NEXT) | instid1(VALU_DEP_4)
	v_and_or_b32 v70, v70, 15, 0x4b000000
	v_lshrrev_b32_e32 v72, 8, v101
	s_delay_alu instid0(VALU_DEP_3) | instskip(NEXT) | instid1(VALU_DEP_3)
	v_and_or_b32 v71, v71, 15, 0x4b000000
	v_add_f32_e32 v115, 0xcb000008, v70
	v_lshrrev_b32_e32 v70, 12, v101
	s_delay_alu instid0(VALU_DEP_4) | instskip(NEXT) | instid1(VALU_DEP_2)
	v_and_or_b32 v72, v72, 15, 0x4b000000
	v_and_or_b32 v70, v70, 15, 0x4b000000
	s_delay_alu instid0(VALU_DEP_2) | instskip(SKIP_1) | instid1(VALU_DEP_3)
	v_add_f32_e32 v118, 0xcb000008, v72
	v_and_or_b32 v72, v106, 15, 0x4b000000
	v_add_f32_e32 v119, 0xcb000008, v70
	v_lshrrev_b32_e32 v70, 8, v106
	s_delay_alu instid0(VALU_DEP_1) | instskip(SKIP_4) | instid1(VALU_DEP_2)
	v_and_or_b32 v70, v70, 15, 0x4b000000
	s_waitcnt vmcnt(0)
	ds_load_b128 v[109:112], v69 offset:4096
	v_lshrrev_b32_e32 v69, 4, v105
	v_ashrrev_i32_e32 v105, 16, v106
	v_and_or_b32 v69, v69, 15, 0x4b000000
	s_delay_alu instid0(VALU_DEP_1) | instskip(SKIP_3) | instid1(VALU_DEP_3)
	v_add_f32_e32 v114, 0xcb000008, v69
	v_lshrrev_b32_e32 v69, 4, v101
	v_and_or_b32 v101, v101, 15, 0x4b000000
	v_add_f32_e32 v94, 0xcb000008, v94
	v_and_or_b32 v69, v69, 15, 0x4b000000
	s_delay_alu instid0(VALU_DEP_3)
	v_dual_add_f32 v101, 0xcb000008, v101 :: v_dual_add_f32 v116, 0xcb000008, v71
	v_lshrrev_b32_e32 v71, 12, v106
	s_waitcnt lgkmcnt(0)
	v_lshrrev_b32_e32 v165, 4, v112
	v_add_f32_e32 v117, 0xcb000008, v69
	v_lshrrev_b32_e32 v69, 4, v106
	v_lshrrev_b32_e32 v166, 8, v112
	v_and_or_b32 v71, v71, 15, 0x4b000000
	v_add_f32_e32 v122, 0xcb000008, v70
	v_lshrrev_b32_e32 v70, 12, v105
	v_and_or_b32 v69, v69, 15, 0x4b000000
	v_add_f32_e32 v120, 0xcb000008, v72
	v_lshrrev_b32_e32 v72, 8, v105
	v_add_f32_e32 v123, 0xcb000008, v71
	v_and_or_b32 v70, v70, 15, 0x4b000000
	v_add_f32_e32 v121, 0xcb000008, v69
	v_lshrrev_b32_e32 v69, 4, v105
	v_and_or_b32 v105, v105, 15, 0x4b000000
	v_and_or_b32 v72, v72, 15, 0x4b000000
	v_add_f32_e32 v127, 0xcb000008, v70
	v_lshrrev_b32_e32 v70, 8, v107
	v_and_or_b32 v69, v69, 15, 0x4b000000
	v_add_f32_e32 v124, 0xcb000008, v105
	v_add_f32_e32 v126, 0xcb000008, v72
	v_and_or_b32 v72, v107, 15, 0x4b000000
	v_ashrrev_i32_e32 v105, 16, v107
	v_add_f32_e32 v125, 0xcb000008, v69
	v_lshrrev_b32_e32 v69, 4, v107
	v_lshrrev_b32_e32 v71, 12, v107
	v_and_or_b32 v70, v70, 15, 0x4b000000
	v_lshrrev_b32_e32 v167, 12, v112
	v_and_or_b32 v168, v112, 15, 0x4b000000
	v_and_or_b32 v69, v69, 15, 0x4b000000
	v_add_f32_e32 v128, 0xcb000008, v72
	v_and_or_b32 v71, v71, 15, 0x4b000000
	v_lshrrev_b32_e32 v72, 8, v105
	s_delay_alu instid0(VALU_DEP_4) | instskip(SKIP_1) | instid1(VALU_DEP_4)
	v_dual_add_f32 v130, 0xcb000008, v70 :: v_dual_add_f32 v129, 0xcb000008, v69
	v_lshrrev_b32_e32 v69, 4, v105
	v_add_f32_e32 v131, 0xcb000008, v71
	v_lshrrev_b32_e32 v70, 12, v105
	v_and_or_b32 v105, v105, 15, 0x4b000000
	v_and_or_b32 v72, v72, 15, 0x4b000000
	;; [unrolled: 1-line block ×3, first 2 shown]
	v_lshrrev_b32_e32 v71, 12, v108
	v_and_or_b32 v70, v70, 15, 0x4b000000
	v_add_f32_e32 v132, 0xcb000008, v105
	s_delay_alu instid0(VALU_DEP_4) | instskip(SKIP_1) | instid1(VALU_DEP_4)
	v_dual_add_f32 v134, 0xcb000008, v72 :: v_dual_add_f32 v133, 0xcb000008, v69
	v_lshrrev_b32_e32 v69, 4, v108
	v_add_f32_e32 v135, 0xcb000008, v70
	v_lshrrev_b32_e32 v70, 8, v108
	v_and_or_b32 v72, v108, 15, 0x4b000000
	v_ashrrev_i32_e32 v105, 16, v108
	v_and_or_b32 v69, v69, 15, 0x4b000000
	v_and_or_b32 v71, v71, 15, 0x4b000000
	v_and_or_b32 v70, v70, 15, 0x4b000000
	v_add_f32_e32 v136, 0xcb000008, v72
	v_lshrrev_b32_e32 v72, 8, v105
	v_add_f32_e32 v137, 0xcb000008, v69
	v_lshrrev_b32_e32 v69, 4, v105
	v_dual_add_f32 v138, 0xcb000008, v70 :: v_dual_add_f32 v139, 0xcb000008, v71
	v_lshrrev_b32_e32 v70, 12, v105
	v_and_or_b32 v105, v105, 15, 0x4b000000
	s_delay_alu instid0(VALU_DEP_4) | instskip(SKIP_4) | instid1(VALU_DEP_4)
	v_and_or_b32 v69, v69, 15, 0x4b000000
	v_and_or_b32 v72, v72, 15, 0x4b000000
	v_lshrrev_b32_e32 v71, 12, v109
	v_and_or_b32 v70, v70, 15, 0x4b000000
	v_add_f32_e32 v140, 0xcb000008, v105
	v_dual_add_f32 v141, 0xcb000008, v69 :: v_dual_add_f32 v142, 0xcb000008, v72
	v_lshrrev_b32_e32 v69, 4, v109
	s_delay_alu instid0(VALU_DEP_4)
	v_add_f32_e32 v143, 0xcb000008, v70
	v_lshrrev_b32_e32 v70, 8, v109
	v_and_or_b32 v72, v109, 15, 0x4b000000
	v_ashrrev_i32_e32 v105, 16, v109
	v_and_or_b32 v69, v69, 15, 0x4b000000
	v_and_or_b32 v71, v71, 15, 0x4b000000
	v_and_or_b32 v70, v70, 15, 0x4b000000
	v_add_f32_e32 v109, 0xcb000008, v72
	v_lshrrev_b32_e32 v72, 8, v105
	v_add_f32_e32 v144, 0xcb000008, v69
	v_lshrrev_b32_e32 v69, 4, v105
	v_dual_add_f32 v145, 0xcb000008, v70 :: v_dual_add_f32 v146, 0xcb000008, v71
	v_lshrrev_b32_e32 v70, 12, v105
	v_and_or_b32 v105, v105, 15, 0x4b000000
	s_delay_alu instid0(VALU_DEP_4) | instskip(SKIP_4) | instid1(VALU_DEP_4)
	v_and_or_b32 v69, v69, 15, 0x4b000000
	v_and_or_b32 v72, v72, 15, 0x4b000000
	v_lshrrev_b32_e32 v71, 12, v110
	v_and_or_b32 v70, v70, 15, 0x4b000000
	v_add_f32_e32 v147, 0xcb000008, v105
	v_dual_add_f32 v148, 0xcb000008, v69 :: v_dual_add_f32 v149, 0xcb000008, v72
	v_lshrrev_b32_e32 v69, 4, v110
	s_delay_alu instid0(VALU_DEP_4)
	;; [unrolled: 23-line block ×3, first 2 shown]
	v_add_f32_e32 v157, 0xcb000008, v70
	v_lshrrev_b32_e32 v70, 8, v111
	v_and_or_b32 v72, v111, 15, 0x4b000000
	v_ashrrev_i32_e32 v105, 16, v111
	v_and_or_b32 v69, v69, 15, 0x4b000000
	v_and_or_b32 v71, v71, 15, 0x4b000000
	;; [unrolled: 1-line block ×3, first 2 shown]
	v_add_f32_e32 v111, 0xcb000008, v72
	v_lshrrev_b32_e32 v72, 8, v105
	v_add_f32_e32 v158, 0xcb000008, v69
	v_lshrrev_b32_e32 v69, 4, v105
	v_lshrrev_b32_e32 v106, 12, v105
	v_dual_add_f32 v159, 0xcb000008, v70 :: v_dual_add_f32 v160, 0xcb000008, v71
	v_and_or_b32 v70, v105, 15, 0x4b000000
	s_delay_alu instid0(VALU_DEP_4) | instskip(SKIP_3) | instid1(VALU_DEP_4)
	v_and_or_b32 v69, v69, 15, 0x4b000000
	v_and_or_b32 v72, v72, 15, 0x4b000000
	;; [unrolled: 1-line block ×3, first 2 shown]
	v_ashrrev_i32_e32 v112, 16, v112
	v_dual_add_f32 v161, 0xcb000008, v70 :: v_dual_add_f32 v162, 0xcb000008, v69
	s_delay_alu instid0(VALU_DEP_3)
	v_dual_add_f32 v163, 0xcb000008, v72 :: v_dual_add_f32 v164, 0xcb000008, v105
	s_clause 0x1
	scratch_load_b32 v69, off, off
	scratch_load_b32 v105, off, off offset:152
	v_lshrrev_b32_e32 v169, 4, v112
	v_lshrrev_b32_e32 v170, 8, v112
	;; [unrolled: 1-line block ×3, first 2 shown]
	v_and_or_b32 v165, v165, 15, 0x4b000000
	v_and_or_b32 v166, v166, 15, 0x4b000000
	;; [unrolled: 1-line block ×7, first 2 shown]
	v_dual_add_f32 v168, 0xcb000008, v168 :: v_dual_add_f32 v165, 0xcb000008, v165
	v_dual_add_f32 v166, 0xcb000008, v166 :: v_dual_add_f32 v167, 0xcb000008, v167
	;; [unrolled: 1-line block ×3, first 2 shown]
	s_delay_alu instid0(VALU_DEP_4)
	v_dual_add_f32 v170, 0xcb000008, v170 :: v_dual_add_f32 v171, 0xcb000008, v171
	s_waitcnt vmcnt(1)
	ds_load_b128 v[69:72], v69
	s_waitcnt vmcnt(0)
	ds_load_b128 v[105:108], v105 offset:4096
	s_waitcnt lgkmcnt(0)
	v_lshrrev_b32_e32 v172, 4, v105
	v_lshrrev_b32_e32 v173, 8, v105
	v_lshrrev_b32_e32 v174, 12, v105
	v_and_or_b32 v175, v105, 15, 0x4b000000
	v_ashrrev_i32_e32 v105, 16, v105
	v_lshrrev_b32_e32 v179, 4, v106
	v_lshrrev_b32_e32 v180, 8, v106
	v_lshrrev_b32_e32 v181, 12, v106
	v_and_or_b32 v182, v106, 15, 0x4b000000
	v_ashrrev_i32_e32 v106, 16, v106
	;; [unrolled: 5-line block ×4, first 2 shown]
	v_lshrrev_b32_e32 v176, 4, v105
	v_lshrrev_b32_e32 v177, 8, v105
	;; [unrolled: 1-line block ×12, first 2 shown]
	v_and_or_b32 v172, v172, 15, 0x4b000000
	v_and_or_b32 v173, v173, 15, 0x4b000000
	;; [unrolled: 1-line block ×28, first 2 shown]
	v_dual_add_f32 v175, 0xcb000008, v175 :: v_dual_add_f32 v172, 0xcb000008, v172
	v_dual_add_f32 v173, 0xcb000008, v173 :: v_dual_add_f32 v174, 0xcb000008, v174
	;; [unrolled: 1-line block ×16, first 2 shown]
	; sched_barrier mask(0x00000000)
	s_barrier
	; sched_barrier mask(0x00000000)
	v_perm_b32 v73, v73, v74, 0x7060302
	v_perm_b32 v74, v75, v76, 0x7060302
	;; [unrolled: 1-line block ×16, first 2 shown]
	v_wmma_f32_16x16x16_bf16 v[1:8], v[65:72], v[73:80], v[1:8]
	s_delay_alu instid0(VALU_DEP_1)
	v_wmma_f32_16x16x16_bf16 v[1:8], v[57:64], v[81:88], v[1:8]
	; sched_barrier mask(0x00000000)
	s_setprio 1
	; sched_barrier mask(0x00000000)
	v_perm_b32 v57, v113, v114, 0x7060302
	v_perm_b32 v58, v115, v116, 0x7060302
	;; [unrolled: 1-line block ×16, first 2 shown]
	v_wmma_f32_16x16x16_bf16 v[1:8], v[49:56], v[57:64], v[1:8]
	v_perm_b32 v54, v166, v167, 0x7060302
	v_perm_b32 v53, v168, v165, 0x7060302
	;; [unrolled: 1-line block ×4, first 2 shown]
	v_wmma_f32_16x16x16_bf16 v[1:8], v[41:48], v[65:72], v[1:8]
	v_perm_b32 v41, v109, v144, 0x7060302
	v_perm_b32 v42, v145, v146, 0x7060302
	;; [unrolled: 1-line block ×12, first 2 shown]
	v_wmma_f32_16x16x16_bf16 v[1:8], v[33:40], v[41:48], v[1:8]
	v_perm_b32 v38, v194, v195, 0x7060302
	v_perm_b32 v37, v196, v193, 0x7060302
	;; [unrolled: 1-line block ×4, first 2 shown]
	v_wmma_f32_16x16x16_bf16 v[1:8], v[25:32], v[49:56], v[1:8]
	v_perm_b32 v25, v175, v172, 0x7060302
	v_perm_b32 v26, v173, v174, 0x7060302
	;; [unrolled: 1-line block ×12, first 2 shown]
	; sched_barrier mask(0x00000000)
	s_waitcnt lgkmcnt(0)
	s_barrier
	; sched_barrier mask(0x00000000)
	v_wmma_f32_16x16x16_bf16 v[1:8], v[17:24], v[25:32], v[1:8]
	s_delay_alu instid0(VALU_DEP_1)
	v_wmma_f32_16x16x16_bf16 v[1:8], v[9:16], v[33:40], v[1:8]
	; sched_barrier mask(0x00000000)
	s_setprio 0
	; sched_barrier mask(0x00000000)
	s_clause 0x2
	scratch_load_b32 v0, off, off offset:240
	scratch_load_b32 v18, off, off offset:244
	;; [unrolled: 1-line block ×3, first 2 shown]
	s_waitcnt lgkmcnt(0)
	s_clause 0x1
	scratch_load_b32 v15, off, off offset:148
	scratch_load_b32 v16, off, off offset:252
	v_bfe_u32 v9, v1, 16, 1
	v_cmp_o_f32_e32 vcc_lo, v1, v1
	v_bfe_u32 v12, v2, 16, 1
	v_bfe_u32 v17, v8, 16, 1
	s_waitcnt vmcnt(0)
	s_barrier
	v_add3_u32 v9, v1, v9, 0x7fff
	s_mov_b32 s15, 0x31004000
	v_add3_u32 v12, v2, v12, 0x7fff
	s_delay_alu instid0(VALU_DEP_2) | instskip(NEXT) | instid1(VALU_DEP_1)
	v_lshrrev_b32_e32 v9, 16, v9
	v_cndmask_b32_e32 v1, 0x7fc0, v9, vcc_lo
	s_delay_alu instid0(VALU_DEP_3) | instskip(SKIP_1) | instid1(VALU_DEP_2)
	v_lshrrev_b32_e32 v9, 16, v12
	v_cmp_o_f32_e32 vcc_lo, v2, v2
	v_cndmask_b32_e32 v2, 0x7fc0, v9, vcc_lo
	v_cmp_o_f32_e32 vcc_lo, v3, v3
	v_lshlrev_b32_e32 v0, 5, v0
	v_lshl_or_b32 v11, s11, 4, v18
	s_delay_alu instid0(VALU_DEP_2) | instskip(NEXT) | instid1(VALU_DEP_2)
	v_and_b32_e32 v0, 0x200, v0
	v_mul_lo_u32 v14, v11, s9
	v_cmp_gt_i32_e64 s0, s4, v11
	s_delay_alu instid0(VALU_DEP_3) | instskip(SKIP_2) | instid1(VALU_DEP_2)
	v_or3_b32 v0, v0, v15, v16
	v_bfe_u32 v15, v3, 16, 1
	v_bfe_u32 v16, v6, 16, 1
	v_add3_u32 v12, v3, v15, 0x7fff
	v_bfe_u32 v15, v4, 16, 1
	s_delay_alu instid0(VALU_DEP_2) | instskip(NEXT) | instid1(VALU_DEP_2)
	v_lshrrev_b32_e32 v9, 16, v12
	v_add3_u32 v12, v4, v15, 0x7fff
	v_bfe_u32 v15, v5, 16, 1
	s_delay_alu instid0(VALU_DEP_3) | instskip(NEXT) | instid1(VALU_DEP_3)
	v_dual_cndmask_b32 v3, 0x7fc0, v9 :: v_dual_and_b32 v10, 56, v10
	v_lshrrev_b32_e32 v9, 16, v12
	s_delay_alu instid0(VALU_DEP_3)
	v_add3_u32 v12, v5, v15, 0x7fff
	v_cmp_o_f32_e32 vcc_lo, v4, v4
	v_add3_u32 v15, v6, v16, 0x7fff
	v_bfe_u32 v16, v7, 16, 1
	v_or_b32_e32 v13, s6, v10
	v_cndmask_b32_e32 v4, 0x7fc0, v9, vcc_lo
	v_lshrrev_b32_e32 v9, 16, v12
	v_cmp_o_f32_e32 vcc_lo, v5, v5
	v_lshlrev_b32_e32 v0, 1, v0
	v_add3_u32 v12, v7, v16, 0x7fff
	v_lshrrev_b32_e32 v15, 16, v15
	v_add3_u32 v16, v8, v17, 0x7fff
	v_cndmask_b32_e32 v5, 0x7fc0, v9, vcc_lo
	v_cmp_o_f32_e32 vcc_lo, v6, v6
	v_lshrrev_b32_e32 v9, 16, v12
	s_delay_alu instid0(VALU_DEP_4) | instskip(SKIP_2) | instid1(VALU_DEP_4)
	v_lshrrev_b32_e32 v12, 16, v16
	v_cndmask_b32_e32 v6, 0x7fc0, v15, vcc_lo
	v_cmp_o_f32_e32 vcc_lo, v7, v7
	v_dual_cndmask_b32 v7, 0x7fc0, v9 :: v_dual_lshlrev_b32 v10, 1, v10
	v_cmp_o_f32_e32 vcc_lo, v8, v8
	s_delay_alu instid0(VALU_DEP_2)
	v_lshl_or_b32 v9, v18, 7, v10
	v_cndmask_b32_e32 v8, 0x7fc0, v12, vcc_lo
	ds_store_b16 v0, v1
	ds_store_b16 v0, v2 offset:128
	ds_store_b16 v0, v3 offset:256
	;; [unrolled: 1-line block ×7, first 2 shown]
	v_or_b32_e32 v4, 4, v13
	s_waitcnt lgkmcnt(0)
	s_barrier
	ds_load_2addr_b64 v[0:3], v9 offset1:1
	v_cmp_gt_i32_e32 vcc_lo, s5, v13
	v_cmp_gt_i32_e64 s1, s5, v4
	v_add_lshl_u32 v4, v14, v13, 1
	s_and_b32 s3, s0, vcc_lo
	s_delay_alu instid0(VALU_DEP_2) | instskip(SKIP_3) | instid1(SALU_CYCLE_1)
	s_and_b32 s0, s0, s1
	v_cndmask_b32_e64 v5, 0x80000000, 0, s3
	v_cndmask_b32_e64 v6, 0x80000000, 0, s0
	s_add_i32 s0, s5, s2
	s_lshl_b32 s14, s0, 1
	s_delay_alu instid0(VALU_DEP_2) | instskip(NEXT) | instid1(VALU_DEP_2)
	v_add_nc_u32_e32 v5, v5, v4
	v_add_nc_u32_e32 v4, v4, v6
	s_waitcnt lgkmcnt(0)
	s_clause 0x1
	buffer_store_b64 v[0:1], v5, s[12:15], 0 offen
	buffer_store_b64 v[2:3], v4, s[12:15], 0 offen offset:8
	s_nop 0
	s_sendmsg sendmsg(MSG_DEALLOC_VGPRS)
	s_endpgm
	.section	.rodata,"a",@progbits
	.p2align	6, 0x0
	.amdhsa_kernel _ZN2ck27kernel_gemm_xdl_cshuffle_v3INS_28GridwiseGemm_xdl_cshuffle_v3INS_13tensor_layout4gemm8RowMajorENS3_11ColumnMajorES4_tNS_7pk_i4_tEfttNS_16tensor_operation12element_wise11PassThroughES9_S9_LNS7_6device18GemmSpecializationE0ELi128ELi16ELi64ELi128ELi8ELi32ELi16ELi16ELi1ELi1ENS_8SequenceIJLi16ELi8ELi1EEEENSC_IJLi1ELi0ELi2EEEESE_Li2ELi8ELi8ELb0ELi0ENSC_IJLi4ELi32ELi1EEEESE_SE_Li2ELi32ELi32ELb0ELi0ELi1ELi1ENSC_IJLi1ELi16ELi1ELi8EEEELi4ELNS_26BlockGemmPipelineSchedulerE1ELNS_24BlockGemmPipelineVersionE1EttLb0ELb1ELb0ELi0ELb0EEELb1ELNS_25InMemoryDataOperationEnumE0ELi2ELNS_10TailNumberE2EEEvNT_8ArgumentE
		.amdhsa_group_segment_fixed_size 8192
		.amdhsa_private_segment_fixed_size 260
		.amdhsa_kernarg_size 112
		.amdhsa_user_sgpr_count 14
		.amdhsa_user_sgpr_dispatch_ptr 0
		.amdhsa_user_sgpr_queue_ptr 0
		.amdhsa_user_sgpr_kernarg_segment_ptr 1
		.amdhsa_user_sgpr_dispatch_id 0
		.amdhsa_user_sgpr_private_segment_size 0
		.amdhsa_wavefront_size32 1
		.amdhsa_uses_dynamic_stack 0
		.amdhsa_enable_private_segment 1
		.amdhsa_system_sgpr_workgroup_id_x 1
		.amdhsa_system_sgpr_workgroup_id_y 0
		.amdhsa_system_sgpr_workgroup_id_z 1
		.amdhsa_system_sgpr_workgroup_info 0
		.amdhsa_system_vgpr_workitem_id 0
		.amdhsa_next_free_vgpr 256
		.amdhsa_next_free_sgpr 29
		.amdhsa_reserve_vcc 1
		.amdhsa_float_round_mode_32 0
		.amdhsa_float_round_mode_16_64 0
		.amdhsa_float_denorm_mode_32 3
		.amdhsa_float_denorm_mode_16_64 3
		.amdhsa_dx10_clamp 1
		.amdhsa_ieee_mode 1
		.amdhsa_fp16_overflow 0
		.amdhsa_workgroup_processor_mode 1
		.amdhsa_memory_ordered 1
		.amdhsa_forward_progress 0
		.amdhsa_shared_vgpr_count 0
		.amdhsa_exception_fp_ieee_invalid_op 0
		.amdhsa_exception_fp_denorm_src 0
		.amdhsa_exception_fp_ieee_div_zero 0
		.amdhsa_exception_fp_ieee_overflow 0
		.amdhsa_exception_fp_ieee_underflow 0
		.amdhsa_exception_fp_ieee_inexact 0
		.amdhsa_exception_int_div_zero 0
	.end_amdhsa_kernel
	.section	.text._ZN2ck27kernel_gemm_xdl_cshuffle_v3INS_28GridwiseGemm_xdl_cshuffle_v3INS_13tensor_layout4gemm8RowMajorENS3_11ColumnMajorES4_tNS_7pk_i4_tEfttNS_16tensor_operation12element_wise11PassThroughES9_S9_LNS7_6device18GemmSpecializationE0ELi128ELi16ELi64ELi128ELi8ELi32ELi16ELi16ELi1ELi1ENS_8SequenceIJLi16ELi8ELi1EEEENSC_IJLi1ELi0ELi2EEEESE_Li2ELi8ELi8ELb0ELi0ENSC_IJLi4ELi32ELi1EEEESE_SE_Li2ELi32ELi32ELb0ELi0ELi1ELi1ENSC_IJLi1ELi16ELi1ELi8EEEELi4ELNS_26BlockGemmPipelineSchedulerE1ELNS_24BlockGemmPipelineVersionE1EttLb0ELb1ELb0ELi0ELb0EEELb1ELNS_25InMemoryDataOperationEnumE0ELi2ELNS_10TailNumberE2EEEvNT_8ArgumentE,"axG",@progbits,_ZN2ck27kernel_gemm_xdl_cshuffle_v3INS_28GridwiseGemm_xdl_cshuffle_v3INS_13tensor_layout4gemm8RowMajorENS3_11ColumnMajorES4_tNS_7pk_i4_tEfttNS_16tensor_operation12element_wise11PassThroughES9_S9_LNS7_6device18GemmSpecializationE0ELi128ELi16ELi64ELi128ELi8ELi32ELi16ELi16ELi1ELi1ENS_8SequenceIJLi16ELi8ELi1EEEENSC_IJLi1ELi0ELi2EEEESE_Li2ELi8ELi8ELb0ELi0ENSC_IJLi4ELi32ELi1EEEESE_SE_Li2ELi32ELi32ELb0ELi0ELi1ELi1ENSC_IJLi1ELi16ELi1ELi8EEEELi4ELNS_26BlockGemmPipelineSchedulerE1ELNS_24BlockGemmPipelineVersionE1EttLb0ELb1ELb0ELi0ELb0EEELb1ELNS_25InMemoryDataOperationEnumE0ELi2ELNS_10TailNumberE2EEEvNT_8ArgumentE,comdat
.Lfunc_end8:
	.size	_ZN2ck27kernel_gemm_xdl_cshuffle_v3INS_28GridwiseGemm_xdl_cshuffle_v3INS_13tensor_layout4gemm8RowMajorENS3_11ColumnMajorES4_tNS_7pk_i4_tEfttNS_16tensor_operation12element_wise11PassThroughES9_S9_LNS7_6device18GemmSpecializationE0ELi128ELi16ELi64ELi128ELi8ELi32ELi16ELi16ELi1ELi1ENS_8SequenceIJLi16ELi8ELi1EEEENSC_IJLi1ELi0ELi2EEEESE_Li2ELi8ELi8ELb0ELi0ENSC_IJLi4ELi32ELi1EEEESE_SE_Li2ELi32ELi32ELb0ELi0ELi1ELi1ENSC_IJLi1ELi16ELi1ELi8EEEELi4ELNS_26BlockGemmPipelineSchedulerE1ELNS_24BlockGemmPipelineVersionE1EttLb0ELb1ELb0ELi0ELb0EEELb1ELNS_25InMemoryDataOperationEnumE0ELi2ELNS_10TailNumberE2EEEvNT_8ArgumentE, .Lfunc_end8-_ZN2ck27kernel_gemm_xdl_cshuffle_v3INS_28GridwiseGemm_xdl_cshuffle_v3INS_13tensor_layout4gemm8RowMajorENS3_11ColumnMajorES4_tNS_7pk_i4_tEfttNS_16tensor_operation12element_wise11PassThroughES9_S9_LNS7_6device18GemmSpecializationE0ELi128ELi16ELi64ELi128ELi8ELi32ELi16ELi16ELi1ELi1ENS_8SequenceIJLi16ELi8ELi1EEEENSC_IJLi1ELi0ELi2EEEESE_Li2ELi8ELi8ELb0ELi0ENSC_IJLi4ELi32ELi1EEEESE_SE_Li2ELi32ELi32ELb0ELi0ELi1ELi1ENSC_IJLi1ELi16ELi1ELi8EEEELi4ELNS_26BlockGemmPipelineSchedulerE1ELNS_24BlockGemmPipelineVersionE1EttLb0ELb1ELb0ELi0ELb0EEELb1ELNS_25InMemoryDataOperationEnumE0ELi2ELNS_10TailNumberE2EEEvNT_8ArgumentE
                                        ; -- End function
	.section	.AMDGPU.csdata,"",@progbits
; Kernel info:
; codeLenInByte = 20468
; NumSgprs: 31
; NumVgprs: 256
; ScratchSize: 260
; MemoryBound: 0
; FloatMode: 240
; IeeeMode: 1
; LDSByteSize: 8192 bytes/workgroup (compile time only)
; SGPRBlocks: 3
; VGPRBlocks: 31
; NumSGPRsForWavesPerEU: 31
; NumVGPRsForWavesPerEU: 256
; Occupancy: 5
; WaveLimiterHint : 0
; COMPUTE_PGM_RSRC2:SCRATCH_EN: 1
; COMPUTE_PGM_RSRC2:USER_SGPR: 14
; COMPUTE_PGM_RSRC2:TRAP_HANDLER: 0
; COMPUTE_PGM_RSRC2:TGID_X_EN: 1
; COMPUTE_PGM_RSRC2:TGID_Y_EN: 0
; COMPUTE_PGM_RSRC2:TGID_Z_EN: 1
; COMPUTE_PGM_RSRC2:TIDIG_COMP_CNT: 0
	.section	.text._ZN2ck27kernel_gemm_xdl_cshuffle_v3INS_28GridwiseGemm_xdl_cshuffle_v3INS_13tensor_layout4gemm8RowMajorENS3_11ColumnMajorES4_tNS_7pk_i4_tEfttNS_16tensor_operation12element_wise11PassThroughES9_S9_LNS7_6device18GemmSpecializationE0ELi128ELi16ELi64ELi128ELi8ELi32ELi16ELi16ELi1ELi1ENS_8SequenceIJLi16ELi8ELi1EEEENSC_IJLi1ELi0ELi2EEEESE_Li2ELi8ELi8ELb0ELi0ENSC_IJLi4ELi32ELi1EEEESE_SE_Li2ELi32ELi32ELb0ELi0ELi1ELi1ENSC_IJLi1ELi16ELi1ELi8EEEELi4ELNS_26BlockGemmPipelineSchedulerE1ELNS_24BlockGemmPipelineVersionE1EttLb0ELb1ELb0ELi0ELb0EEELb1ELNS_25InMemoryDataOperationEnumE0ELi2ELNS_10TailNumberE10EEEvNT_8ArgumentE,"axG",@progbits,_ZN2ck27kernel_gemm_xdl_cshuffle_v3INS_28GridwiseGemm_xdl_cshuffle_v3INS_13tensor_layout4gemm8RowMajorENS3_11ColumnMajorES4_tNS_7pk_i4_tEfttNS_16tensor_operation12element_wise11PassThroughES9_S9_LNS7_6device18GemmSpecializationE0ELi128ELi16ELi64ELi128ELi8ELi32ELi16ELi16ELi1ELi1ENS_8SequenceIJLi16ELi8ELi1EEEENSC_IJLi1ELi0ELi2EEEESE_Li2ELi8ELi8ELb0ELi0ENSC_IJLi4ELi32ELi1EEEESE_SE_Li2ELi32ELi32ELb0ELi0ELi1ELi1ENSC_IJLi1ELi16ELi1ELi8EEEELi4ELNS_26BlockGemmPipelineSchedulerE1ELNS_24BlockGemmPipelineVersionE1EttLb0ELb1ELb0ELi0ELb0EEELb1ELNS_25InMemoryDataOperationEnumE0ELi2ELNS_10TailNumberE10EEEvNT_8ArgumentE,comdat
	.protected	_ZN2ck27kernel_gemm_xdl_cshuffle_v3INS_28GridwiseGemm_xdl_cshuffle_v3INS_13tensor_layout4gemm8RowMajorENS3_11ColumnMajorES4_tNS_7pk_i4_tEfttNS_16tensor_operation12element_wise11PassThroughES9_S9_LNS7_6device18GemmSpecializationE0ELi128ELi16ELi64ELi128ELi8ELi32ELi16ELi16ELi1ELi1ENS_8SequenceIJLi16ELi8ELi1EEEENSC_IJLi1ELi0ELi2EEEESE_Li2ELi8ELi8ELb0ELi0ENSC_IJLi4ELi32ELi1EEEESE_SE_Li2ELi32ELi32ELb0ELi0ELi1ELi1ENSC_IJLi1ELi16ELi1ELi8EEEELi4ELNS_26BlockGemmPipelineSchedulerE1ELNS_24BlockGemmPipelineVersionE1EttLb0ELb1ELb0ELi0ELb0EEELb1ELNS_25InMemoryDataOperationEnumE0ELi2ELNS_10TailNumberE10EEEvNT_8ArgumentE ; -- Begin function _ZN2ck27kernel_gemm_xdl_cshuffle_v3INS_28GridwiseGemm_xdl_cshuffle_v3INS_13tensor_layout4gemm8RowMajorENS3_11ColumnMajorES4_tNS_7pk_i4_tEfttNS_16tensor_operation12element_wise11PassThroughES9_S9_LNS7_6device18GemmSpecializationE0ELi128ELi16ELi64ELi128ELi8ELi32ELi16ELi16ELi1ELi1ENS_8SequenceIJLi16ELi8ELi1EEEENSC_IJLi1ELi0ELi2EEEESE_Li2ELi8ELi8ELb0ELi0ENSC_IJLi4ELi32ELi1EEEESE_SE_Li2ELi32ELi32ELb0ELi0ELi1ELi1ENSC_IJLi1ELi16ELi1ELi8EEEELi4ELNS_26BlockGemmPipelineSchedulerE1ELNS_24BlockGemmPipelineVersionE1EttLb0ELb1ELb0ELi0ELb0EEELb1ELNS_25InMemoryDataOperationEnumE0ELi2ELNS_10TailNumberE10EEEvNT_8ArgumentE
	.globl	_ZN2ck27kernel_gemm_xdl_cshuffle_v3INS_28GridwiseGemm_xdl_cshuffle_v3INS_13tensor_layout4gemm8RowMajorENS3_11ColumnMajorES4_tNS_7pk_i4_tEfttNS_16tensor_operation12element_wise11PassThroughES9_S9_LNS7_6device18GemmSpecializationE0ELi128ELi16ELi64ELi128ELi8ELi32ELi16ELi16ELi1ELi1ENS_8SequenceIJLi16ELi8ELi1EEEENSC_IJLi1ELi0ELi2EEEESE_Li2ELi8ELi8ELb0ELi0ENSC_IJLi4ELi32ELi1EEEESE_SE_Li2ELi32ELi32ELb0ELi0ELi1ELi1ENSC_IJLi1ELi16ELi1ELi8EEEELi4ELNS_26BlockGemmPipelineSchedulerE1ELNS_24BlockGemmPipelineVersionE1EttLb0ELb1ELb0ELi0ELb0EEELb1ELNS_25InMemoryDataOperationEnumE0ELi2ELNS_10TailNumberE10EEEvNT_8ArgumentE
	.p2align	8
	.type	_ZN2ck27kernel_gemm_xdl_cshuffle_v3INS_28GridwiseGemm_xdl_cshuffle_v3INS_13tensor_layout4gemm8RowMajorENS3_11ColumnMajorES4_tNS_7pk_i4_tEfttNS_16tensor_operation12element_wise11PassThroughES9_S9_LNS7_6device18GemmSpecializationE0ELi128ELi16ELi64ELi128ELi8ELi32ELi16ELi16ELi1ELi1ENS_8SequenceIJLi16ELi8ELi1EEEENSC_IJLi1ELi0ELi2EEEESE_Li2ELi8ELi8ELb0ELi0ENSC_IJLi4ELi32ELi1EEEESE_SE_Li2ELi32ELi32ELb0ELi0ELi1ELi1ENSC_IJLi1ELi16ELi1ELi8EEEELi4ELNS_26BlockGemmPipelineSchedulerE1ELNS_24BlockGemmPipelineVersionE1EttLb0ELb1ELb0ELi0ELb0EEELb1ELNS_25InMemoryDataOperationEnumE0ELi2ELNS_10TailNumberE10EEEvNT_8ArgumentE,@function
_ZN2ck27kernel_gemm_xdl_cshuffle_v3INS_28GridwiseGemm_xdl_cshuffle_v3INS_13tensor_layout4gemm8RowMajorENS3_11ColumnMajorES4_tNS_7pk_i4_tEfttNS_16tensor_operation12element_wise11PassThroughES9_S9_LNS7_6device18GemmSpecializationE0ELi128ELi16ELi64ELi128ELi8ELi32ELi16ELi16ELi1ELi1ENS_8SequenceIJLi16ELi8ELi1EEEENSC_IJLi1ELi0ELi2EEEESE_Li2ELi8ELi8ELb0ELi0ENSC_IJLi4ELi32ELi1EEEESE_SE_Li2ELi32ELi32ELb0ELi0ELi1ELi1ENSC_IJLi1ELi16ELi1ELi8EEEELi4ELNS_26BlockGemmPipelineSchedulerE1ELNS_24BlockGemmPipelineVersionE1EttLb0ELb1ELb0ELi0ELb0EEELb1ELNS_25InMemoryDataOperationEnumE0ELi2ELNS_10TailNumberE10EEEvNT_8ArgumentE: ; @_ZN2ck27kernel_gemm_xdl_cshuffle_v3INS_28GridwiseGemm_xdl_cshuffle_v3INS_13tensor_layout4gemm8RowMajorENS3_11ColumnMajorES4_tNS_7pk_i4_tEfttNS_16tensor_operation12element_wise11PassThroughES9_S9_LNS7_6device18GemmSpecializationE0ELi128ELi16ELi64ELi128ELi8ELi32ELi16ELi16ELi1ELi1ENS_8SequenceIJLi16ELi8ELi1EEEENSC_IJLi1ELi0ELi2EEEESE_Li2ELi8ELi8ELb0ELi0ENSC_IJLi4ELi32ELi1EEEESE_SE_Li2ELi32ELi32ELb0ELi0ELi1ELi1ENSC_IJLi1ELi16ELi1ELi8EEEELi4ELNS_26BlockGemmPipelineSchedulerE1ELNS_24BlockGemmPipelineVersionE1EttLb0ELb1ELb0ELi0ELb0EEELb1ELNS_25InMemoryDataOperationEnumE0ELi2ELNS_10TailNumberE10EEEvNT_8ArgumentE
; %bb.0:
	s_clause 0x3
	s_load_b256 s[4:11], s[0:1], 0x10
	s_load_b32 s2, s[0:1], 0x68
	s_load_b64 s[20:21], s[0:1], 0x60
	s_load_b128 s[16:19], s[0:1], 0x50
	s_mov_b64 s[22:23], 0
	s_waitcnt lgkmcnt(0)
	s_cmp_gt_i32 s10, 1
	s_cselect_b32 s3, -1, 0
	s_bitcmp1_b32 s2, 0
	s_cselect_b32 s2, -1, 0
	s_delay_alu instid0(SALU_CYCLE_1) | instskip(NEXT) | instid1(SALU_CYCLE_1)
	s_and_b32 s2, s3, s2
	s_and_not1_b32 vcc_lo, exec_lo, s2
	s_cbranch_vccnz .LBB9_2
; %bb.1:
	s_mul_i32 s2, s4, s15
	s_delay_alu instid0(SALU_CYCLE_1) | instskip(NEXT) | instid1(SALU_CYCLE_1)
	s_mul_i32 s22, s2, s5
	s_ashr_i32 s23, s22, 31
.LBB9_2:
	s_clause 0x1
	s_load_b32 s2, s[0:1], 0x34
	s_load_b32 s25, s[0:1], 0x3c
	s_add_i32 s0, s4, -1
	s_mov_b32 s24, 0
	s_cmp_lt_u32 s0, 16
	s_cbranch_scc1 .LBB9_6
; %bb.3:
	s_add_i32 s0, s5, -1
	s_delay_alu instid0(SALU_CYCLE_1)
	s_cmp_lt_u32 s0, 64
	s_mov_b32 s0, 0
	s_cbranch_scc1 .LBB9_10
; %bb.4:
	s_add_i32 s0, s4, 15
	s_add_i32 s1, s5, 63
	s_ashr_i32 s3, s0, 31
	s_ashr_i32 s11, s1, 31
	s_lshr_b32 s3, s3, 28
	s_lshr_b32 s11, s11, 26
	s_add_i32 s0, s0, s3
	s_add_i32 s3, s1, s11
	s_ashr_i32 s1, s0, 4
	s_ashr_i32 s0, s3, 6
	;; [unrolled: 1-line block ×3, first 2 shown]
	s_mul_i32 s3, s0, s1
	s_delay_alu instid0(SALU_CYCLE_1) | instskip(NEXT) | instid1(SALU_CYCLE_1)
	s_add_i32 s11, s3, 7
	s_ashr_i32 s12, s11, 31
	s_delay_alu instid0(SALU_CYCLE_1) | instskip(NEXT) | instid1(SALU_CYCLE_1)
	s_lshr_b32 s12, s12, 29
	s_add_i32 s27, s11, s12
	s_lshr_b32 s11, s13, 29
	s_and_b32 s12, s27, -8
	s_add_i32 s26, s14, s11
	s_sub_i32 s11, s3, s12
	s_and_b32 s3, s26, -8
	s_add_i32 s11, s11, 8
	s_sub_i32 s12, s14, s3
	s_ashr_i32 s13, s27, 3
	s_cmp_gt_i32 s12, s11
	s_cbranch_scc1 .LBB9_7
; %bb.5:
	s_mul_i32 s3, s13, s12
	s_ashr_i32 s14, s26, 3
	s_cbranch_execz .LBB9_8
	s_branch .LBB9_9
.LBB9_6:
	s_mov_b32 s11, 0
	s_branch .LBB9_11
.LBB9_7:
                                        ; implicit-def: $sgpr3
	s_ashr_i32 s14, s26, 3
.LBB9_8:
	s_add_i32 s3, s13, -1
	s_delay_alu instid0(SALU_CYCLE_1) | instskip(NEXT) | instid1(SALU_CYCLE_1)
	s_mul_i32 s3, s3, s12
	s_add_i32 s3, s11, s3
.LBB9_9:
	s_abs_i32 s11, s0
	s_add_i32 s3, s3, s14
	v_cvt_f32_u32_e32 v1, s11
	s_sub_i32 s13, 0, s11
	s_abs_i32 s14, s3
	s_delay_alu instid0(VALU_DEP_1) | instskip(SKIP_2) | instid1(VALU_DEP_1)
	v_rcp_iflag_f32_e32 v1, v1
	s_waitcnt_depctr 0xfff
	v_mul_f32_e32 v1, 0x4f7ffffe, v1
	v_cvt_u32_f32_e32 v1, v1
	s_delay_alu instid0(VALU_DEP_1) | instskip(NEXT) | instid1(VALU_DEP_1)
	v_readfirstlane_b32 s12, v1
	s_mul_i32 s13, s13, s12
	s_delay_alu instid0(SALU_CYCLE_1) | instskip(NEXT) | instid1(SALU_CYCLE_1)
	s_mul_hi_u32 s13, s12, s13
	s_add_i32 s12, s12, s13
	s_xor_b32 s13, s3, s0
	s_mul_hi_u32 s12, s14, s12
	s_ashr_i32 s13, s13, 31
	s_mul_i32 s26, s12, s11
	s_delay_alu instid0(SALU_CYCLE_1)
	s_sub_i32 s14, s14, s26
	s_add_i32 s26, s12, 1
	s_sub_i32 s27, s14, s11
	s_cmp_ge_u32 s14, s11
	s_cselect_b32 s12, s26, s12
	s_cselect_b32 s14, s27, s14
	s_add_i32 s26, s12, 1
	s_cmp_ge_u32 s14, s11
	s_cselect_b32 s11, s26, s12
	s_lshr_b32 s12, s1, 30
	s_xor_b32 s11, s11, s13
	s_add_i32 s12, s1, s12
	s_sub_i32 s11, s11, s13
	s_and_b32 s12, s12, -4
	s_mul_i32 s13, s11, s0
	s_sub_i32 s1, s1, s12
	s_sub_i32 s3, s3, s13
	s_cmp_ge_i32 s11, s12
	s_cselect_b32 s1, s1, 4
	s_ashr_i32 s13, s11, 31
	s_abs_i32 s12, s1
	s_lshr_b32 s13, s13, 30
	v_cvt_f32_u32_e32 v1, s12
	s_add_i32 s13, s11, s13
	s_sub_i32 s26, 0, s12
	s_and_b32 s13, s13, -4
	s_delay_alu instid0(SALU_CYCLE_1) | instskip(SKIP_2) | instid1(SALU_CYCLE_1)
	s_sub_i32 s13, s11, s13
	v_rcp_iflag_f32_e32 v1, v1
	s_mul_i32 s0, s13, s0
	s_add_i32 s3, s0, s3
	s_waitcnt_depctr 0xfff
	v_mul_f32_e32 v1, 0x4f7ffffe, v1
	s_delay_alu instid0(VALU_DEP_1) | instskip(NEXT) | instid1(VALU_DEP_1)
	v_cvt_u32_f32_e32 v1, v1
	v_readfirstlane_b32 s14, v1
	s_delay_alu instid0(VALU_DEP_1) | instskip(NEXT) | instid1(SALU_CYCLE_1)
	s_mul_i32 s26, s26, s14
	s_mul_hi_u32 s0, s14, s26
	s_abs_i32 s26, s3
	s_add_i32 s14, s14, s0
	s_delay_alu instid0(SALU_CYCLE_1)
	s_mul_hi_u32 s0, s26, s14
	s_xor_b32 s14, s3, s1
	s_mul_i32 s27, s0, s12
	s_ashr_i32 s14, s14, 31
	s_sub_i32 s26, s26, s27
	s_add_i32 s27, s0, 1
	s_sub_i32 s28, s26, s12
	s_cmp_ge_u32 s26, s12
	s_cselect_b32 s0, s27, s0
	s_cselect_b32 s26, s28, s26
	s_add_i32 s27, s0, 1
	s_cmp_ge_u32 s26, s12
	s_cselect_b32 s0, s27, s0
	s_delay_alu instid0(SALU_CYCLE_1) | instskip(NEXT) | instid1(SALU_CYCLE_1)
	s_xor_b32 s0, s0, s14
	s_sub_i32 s0, s0, s14
	s_delay_alu instid0(SALU_CYCLE_1) | instskip(NEXT) | instid1(SALU_CYCLE_1)
	s_mul_i32 s1, s0, s1
	s_sub_i32 s1, s3, s1
	s_delay_alu instid0(SALU_CYCLE_1) | instskip(NEXT) | instid1(SALU_CYCLE_1)
	s_add_i32 s1, s1, s11
	s_sub_i32 s14, s1, s13
.LBB9_10:
	s_delay_alu instid0(SALU_CYCLE_1)
	s_mov_b32 s11, s14
	s_mov_b32 s14, s0
.LBB9_11:
	s_waitcnt lgkmcnt(0)
	s_mul_i32 s0, s2, s15
	v_lshrrev_b32_e32 v33, 3, v0
	s_ashr_i32 s1, s0, 31
	s_mul_i32 s3, s0, s5
	s_lshl_b64 s[0:1], s[0:1], 1
	s_lshr_b32 s3, s3, 1
	s_add_u32 s0, s16, s0
	s_addc_u32 s1, s17, s1
	s_add_u32 s12, s18, s3
	s_addc_u32 s13, s19, 0
	s_add_u32 s16, 0, 0
	s_addc_u32 s17, s4, -1
	s_ashr_i32 s3, s8, 31
	s_add_i32 s10, s10, -1
	s_lshr_b32 s3, s3, 25
	s_mul_i32 s18, s10, s2
	s_add_i32 s3, s8, s3
	s_lshl_b32 s8, s5, 7
	s_ashr_i32 s19, s3, 7
	s_sub_i32 s3, s6, s18
	v_and_b32_e32 v22, 14, v33
	s_cmp_lt_u32 s15, s10
	v_lshrrev_b32_e32 v2, 1, v0
	s_cselect_b32 s2, s2, s3
	s_lshl_b32 s3, s11, 4
	v_and_b32_e32 v3, 3, v0
	v_dual_mov_b32 v92, 3 :: v_dual_add_nc_u32 v1, s3, v22
	s_lshl_b32 s6, s14, 6
	v_and_b32_e32 v69, 15, v0
	s_delay_alu instid0(VALU_DEP_3) | instskip(NEXT) | instid1(VALU_DEP_3)
	v_lshlrev_b32_e32 v4, 5, v3
	v_mul_lo_u32 v23, v1, s7
	v_and_b32_e32 v1, 62, v2
	s_mul_i32 s10, s17, s7
	s_mov_b32 s3, 0x31004000
	s_add_i32 s2, s2, s10
	s_mul_i32 s14, s5, s19
	v_add_nc_u32_e32 v1, s6, v1
	s_lshl_b32 s2, s2, 1
	v_lshl_add_u32 v5, v69, 3, v23
	s_mov_b32 s15, s3
	s_lshl_b32 s14, s14, 6
	v_lshl_or_b32 v1, v1, 7, v4
	v_or_b32_e32 v120, 1, v33
	v_lshlrev_b32_e32 v4, 1, v5
	v_add_lshl_u32 v10, v5, s7, 1
	s_clause 0x1
	buffer_load_b128 v[6:9], v4, s[0:3], 0 offen
	buffer_load_b128 v[10:13], v10, s[0:3], 0 offen
	v_add_nc_u32_e32 v14, 0x80, v1
	v_add_nc_u32_e32 v15, s8, v1
	v_ashrrev_i32_e32 v1, 1, v1
	v_add_nc_u32_e32 v27, 0x80, v5
	v_add_nc_u32_e32 v5, 0x100, v5
	v_ashrrev_i32_e32 v4, 1, v14
	v_ashrrev_i32_e32 v24, 1, v15
	v_add_nc_u32_e32 v25, 0x80, v15
	v_add_nc_u32_e32 v26, s8, v15
	s_clause 0x1
	buffer_load_b128 v[14:17], v1, s[12:15], 0 offen
	buffer_load_b128 v[18:21], v4, s[12:15], 0 offen
	v_lshlrev_b32_e32 v28, 1, v27
	v_add_lshl_u32 v27, v27, s7, 1
	v_ashrrev_i32_e32 v1, 1, v25
	v_add_nc_u32_e32 v25, 0x80, v26
	v_lshlrev_b32_e32 v29, 1, v5
	v_add_lshl_u32 v5, v5, s7, 1
	v_ashrrev_i32_e32 v4, 1, v26
	s_clause 0x1
	buffer_load_b128 v[45:48], v24, s[12:15], 0 offen
	buffer_load_b128 v[41:44], v1, s[12:15], 0 offen
	v_ashrrev_i32_e32 v1, 1, v25
	s_clause 0x3
	buffer_load_b128 v[53:56], v28, s[0:3], 0 offen
	buffer_load_b128 v[49:52], v27, s[0:3], 0 offen
	buffer_load_b128 v[243:246], v29, s[0:3], 0 offen
	buffer_load_b128 v[81:84], v5, s[0:3], 0 offen
	s_clause 0x1
	buffer_load_b128 v[247:250], v4, s[12:15], 0 offen
	buffer_load_b128 v[85:88], v1, s[12:15], 0 offen
	v_lshrrev_b32_e32 v4, 2, v0
	v_mov_b32_e32 v1, 0
	v_bfe_u32 v24, v0, 2, 3
	v_lshlrev_b32_e32 v29, 3, v0
	v_bfe_u32 v5, v0, 1, 3
	scratch_store_b32 off, v0, off offset:228 ; 4-byte Folded Spill
	v_and_b32_e32 v25, 1, v0
	v_lshlrev_b32_e32 v28, 8, v4
	v_and_b32_e32 v0, 48, v2
	scratch_store_b32 off, v33, off offset:232 ; 4-byte Folded Spill
	v_mov_b32_e32 v4, v1
	v_xor_b32_e32 v71, v22, v69
	v_lshlrev_b32_e32 v33, 7, v22
	scratch_store_b32 off, v0, off offset:240 ; 4-byte Folded Spill
	v_or_b32_e32 v36, 1, v22
	v_sub_nc_u32_e32 v22, v120, v22
	v_lshlrev_b32_e32 v27, 1, v3
	v_or_b32_e32 v35, v0, v69
	v_or_b32_e32 v30, 2, v25
	;; [unrolled: 1-line block ×3, first 2 shown]
	v_lshlrev_b32_e32 v0, 7, v22
	s_clause 0x1
	scratch_store_b32 off, v69, off offset:144
	scratch_store_b32 off, v29, off offset:236
	v_and_or_b32 v29, v29, 8, v5
	v_xor_b32_e32 v34, v27, v24
	scratch_store_b32 off, v0, off offset:208 ; 4-byte Folded Spill
	v_or_b32_e32 v27, 1, v27
	v_or_b32_e32 v32, 6, v25
	v_lshlrev_b32_e32 v37, 8, v29
	v_xor_b32_e32 v38, 1, v29
	v_lshlrev_b32_e32 v2, 4, v69
	v_xor_b32_e32 v39, 2, v29
	v_xor_b32_e32 v36, v36, v69
	;; [unrolled: 1-line block ×3, first 2 shown]
	v_bfe_u32 v27, v35, 1, 3
	v_lshl_or_b32 v69, v29, 4, v37
	v_sub_nc_u32_e32 v37, v38, v29
	v_lshrrev_b32_e32 v35, 1, v35
	v_xor_b32_e32 v40, 3, v29
	v_sub_nc_u32_e32 v38, v39, v29
	v_add_nc_u32_e32 v0, -1, v22
	v_xor_b32_e32 v25, v27, v25
	v_xor_b32_e32 v30, v27, v30
	;; [unrolled: 1-line block ×4, first 2 shown]
	v_lshlrev_b32_e32 v32, 8, v35
	v_lshlrev_b32_e32 v35, 4, v37
	v_xor_b32_e32 v57, 4, v29
	v_sub_nc_u32_e32 v39, v40, v29
	scratch_store_b32 off, v0, off offset:212 ; 4-byte Folded Spill
	v_lshlrev_b32_e32 v37, 4, v38
	v_add_nc_u32_e32 v0, v69, v35
	v_xor_b32_e32 v58, 5, v29
	v_sub_nc_u32_e32 v40, v57, v29
	s_clause 0x2
	scratch_store_b32 off, v71, off
	scratch_store_b32 off, v2, off offset:204
	scratch_store_b32 off, v0, off offset:120
	v_lshlrev_b32_e32 v38, 4, v39
	v_add_nc_u32_e32 v0, v69, v37
	v_xor_b32_e32 v59, 6, v29
	v_sub_nc_u32_e32 v57, v58, v29
	v_lshlrev_b32_e32 v39, 4, v40
	v_xor_b32_e32 v60, 7, v29
	scratch_store_b32 off, v0, off offset:136 ; 4-byte Folded Spill
	v_add_nc_u32_e32 v0, v69, v38
	v_sub_nc_u32_e32 v58, v59, v29
	v_lshlrev_b32_e32 v40, 4, v57
	v_xor_b32_e32 v61, 8, v29
	v_sub_nc_u32_e32 v59, v60, v29
	scratch_store_b32 off, v0, off offset:152 ; 4-byte Folded Spill
	v_add_nc_u32_e32 v0, v69, v39
	v_lshlrev_b32_e32 v57, 4, v58
	v_xor_b32_e32 v62, 9, v29
	v_sub_nc_u32_e32 v60, v61, v29
	v_lshlrev_b32_e32 v58, 4, v59
	scratch_store_b32 off, v0, off offset:156 ; 4-byte Folded Spill
	v_add_nc_u32_e32 v0, v69, v40
	v_xor_b32_e32 v63, 10, v29
	v_sub_nc_u32_e32 v61, v62, v29
	v_lshlrev_b32_e32 v59, 4, v60
	v_xor_b32_e32 v64, 11, v29
	scratch_store_b32 off, v0, off offset:160 ; 4-byte Folded Spill
	v_add_nc_u32_e32 v0, v69, v57
	v_sub_nc_u32_e32 v62, v63, v29
	v_lshlrev_b32_e32 v60, 4, v61
	v_xor_b32_e32 v65, 12, v29
	v_sub_nc_u32_e32 v63, v64, v29
	scratch_store_b32 off, v0, off offset:164 ; 4-byte Folded Spill
	v_add_nc_u32_e32 v0, v69, v58
	v_lshlrev_b32_e32 v61, 4, v62
	v_xor_b32_e32 v66, 13, v29
	v_sub_nc_u32_e32 v64, v65, v29
	v_lshlrev_b32_e32 v62, 4, v63
	scratch_store_b32 off, v0, off offset:168 ; 4-byte Folded Spill
	v_add_nc_u32_e32 v0, v69, v59
	v_xor_b32_e32 v67, 14, v29
	v_sub_nc_u32_e32 v65, v66, v29
	v_lshlrev_b32_e32 v63, 4, v64
	v_xor_b32_e32 v68, 15, v29
	scratch_store_b32 off, v0, off offset:172 ; 4-byte Folded Spill
	v_add_nc_u32_e32 v0, v69, v60
	v_sub_nc_u32_e32 v66, v67, v29
	v_lshlrev_b32_e32 v64, 4, v65
	v_sub_nc_u32_e32 v29, v68, v29
	v_sub_nc_u32_e32 v68, v24, v34
	scratch_store_b32 off, v0, off offset:176 ; 4-byte Folded Spill
	v_add_nc_u32_e32 v0, v69, v61
	v_lshlrev_b32_e32 v65, 4, v66
	v_lshlrev_b32_e32 v29, 4, v29
	v_lshl_or_b32 v28, v34, 5, v28
	v_sub_nc_u32_e32 v24, v34, v24
	scratch_store_b32 off, v0, off offset:180 ; 4-byte Folded Spill
	v_add_nc_u32_e32 v0, v69, v62
	v_lshl_or_b32 v32, v25, 5, v32
	v_sub_nc_u32_e32 v30, v30, v25
	v_sub_nc_u32_e32 v31, v31, v25
	;; [unrolled: 1-line block ×3, first 2 shown]
	scratch_store_b32 off, v0, off offset:184 ; 4-byte Folded Spill
	v_add_nc_u32_e32 v0, v69, v63
	v_lshlrev_b32_e32 v27, 5, v68
	v_lshlrev_b32_e32 v68, 5, v24
	v_lshrrev_b32_e32 v34, 1, v28
	v_lshlrev_b32_e32 v25, 5, v25
	scratch_store_b32 off, v0, off offset:188 ; 4-byte Folded Spill
	v_add_nc_u32_e32 v0, v69, v64
	v_add_nc_u32_e32 v24, v27, v28
	v_lshlrev_b32_e32 v28, 5, v31
	v_lshlrev_b32_e32 v126, 1, v23
	v_add_nc_u16 v25, v32, v25
	scratch_store_b32 off, v0, off offset:192 ; 4-byte Folded Spill
	v_add_nc_u32_e32 v0, v69, v65
	s_clause 0x1
	scratch_store_b32 off, v0, off offset:196
	scratch_store_b32 off, v69, off offset:148
	v_add_nc_u32_e32 v0, v69, v29
	v_ashrrev_i32_e32 v29, 1, v24
	v_add_nc_u32_e32 v130, v24, v68
	v_lshl_or_b32 v33, v71, 3, v33
	v_ashrrev_i16 v25, 1, v25
	scratch_store_b32 off, v0, off offset:200 ; 4-byte Folded Spill
	v_lshrrev_b32_e32 v0, 1, v32
	scratch_store_b32 off, v27, off offset:216 ; 4-byte Folded Spill
	v_lshlrev_b32_e32 v27, 5, v30
	v_sub_nc_u32_e32 v22, v36, v71
	v_lshlrev_b32_e32 v67, 1, v33
	scratch_store_b32 off, v0, off offset:140 ; 4-byte Folded Spill
	v_sub_nc_u32_e32 v36, v71, v36
	v_add_nc_u16 v24, v32, v27
	v_add_nc_u16 v27, v32, v28
	v_add_nc_u32_e32 v28, s7, v23
	v_lshlrev_b32_e32 v66, 3, v22
	v_lshl_add_u32 v22, v22, 4, v67
	v_ashrrev_i16 v23, 1, v24
	v_ashrrev_i16 v24, 1, v27
	s_ashr_i32 s10, s25, 31
	v_lshlrev_b32_e32 v36, 3, v36
	s_lshr_b32 s10, s10, 28
	v_bfe_i32 v0, v23, 0, 16
	s_add_i32 s25, s25, s10
	v_mov_b32_e32 v2, v1
	v_or_b32_e32 v70, 12, v3
	v_mov_b32_e32 v3, v1
	scratch_store_b32 off, v0, off offset:132 ; 4-byte Folded Spill
	v_bfe_i32 v0, v24, 0, 16
	v_mov_b32_e32 v5, v1
	v_add3_u32 v57, v66, v33, v36
	v_lshl_add_u32 v127, v28, 1, 0x500
	v_add_nc_u32_e32 v89, s8, v26
	scratch_store_b32 off, v0, off offset:128 ; 4-byte Folded Spill
	v_bfe_i32 v0, v25, 0, 16
	scratch_store_b32 off, v68, off offset:220 ; 4-byte Folded Spill
	s_ashr_i32 s7, s25, 4
	s_delay_alu instid0(SALU_CYCLE_1)
	s_add_i32 s7, s7, -3
	scratch_store_b32 off, v0, off offset:124 ; 4-byte Folded Spill
	s_waitcnt vmcnt(11)
	ds_store_b128 v67, v[6:9]
	s_waitcnt vmcnt(10)
	ds_store_b128 v22, v[10:13] offset:256
	v_mov_b32_e32 v6, v1
	v_mov_b32_e32 v7, v1
	;; [unrolled: 1-line block ×3, first 2 shown]
	s_waitcnt vmcnt(9)
	ds_store_b128 v34, v[14:17] offset:4096
	s_waitcnt vmcnt(8)
	ds_store_b128 v29, v[18:21] offset:4096
	s_clause 0x1
	scratch_load_b32 v129, off, off offset:148
	scratch_load_b32 v118, off, off offset:184
.LBB9_12:                               ; =>This Inner Loop Header: Depth=1
	s_waitcnt vmcnt(5)
	scratch_store_b128 off, v[243:246], off offset:100 ; 16-byte Folded Spill
	s_waitcnt vmcnt(3)
	scratch_store_b128 off, v[247:250], off offset:84 ; 16-byte Folded Spill
	;; [unrolled: 2-line block ×3, first 2 shown]
	s_waitcnt vmcnt(0) lgkmcnt(0)
	s_waitcnt_vscnt null, 0x0
	s_barrier
	scratch_load_b32 v80, off, off offset:140 ; 4-byte Folded Reload
	v_dual_mov_b32 v76, v44 :: v_dual_mov_b32 v75, v43
	v_dual_mov_b32 v74, v42 :: v_dual_mov_b32 v73, v41
	;; [unrolled: 1-line block ×3, first 2 shown]
	v_mov_b32_e32 v87, v83
	v_mov_b32_e32 v85, v81
	s_waitcnt vmcnt(0)
	ds_load_b128 v[9:12], v80 offset:4096
	ds_load_b128 v[58:61], v129
	s_clause 0x1
	scratch_load_b32 v0, off, off offset:132
	scratch_load_b32 v77, off, off offset:188
	v_mov_b32_e32 v86, v82
	s_clause 0x2
	scratch_load_b32 v83, off, off offset:156
	scratch_load_b32 v79, off, off offset:124
	;; [unrolled: 1-line block ×3, first 2 shown]
	ds_load_b128 v[29:32], v118
	s_waitcnt lgkmcnt(2)
	v_lshrrev_b32_e32 v66, 4, v9
	v_lshrrev_b32_e32 v67, 8, v9
	v_lshrrev_b32_e32 v68, 12, v9
	v_and_or_b32 v69, v9, 15, 0x4b000000
	v_ashrrev_i32_e32 v70, 16, v9
	v_lshrrev_b32_e32 v71, 4, v10
	v_lshrrev_b32_e32 v72, 8, v10
	v_lshrrev_b32_e32 v90, 12, v10
	v_and_or_b32 v91, v10, 15, 0x4b000000
	v_ashrrev_i32_e32 v117, 16, v10
	;; [unrolled: 5-line block ×3, first 2 shown]
	v_lshrrev_b32_e32 v158, 4, v12
	v_and_or_b32 v159, v12, 15, 0x4b000000
	v_lshrrev_b32_e32 v160, 8, v12
	v_lshrrev_b32_e32 v161, 12, v12
	v_ashrrev_i32_e32 v162, 16, v12
	v_and_or_b32 v66, v66, 15, 0x4b000000
	v_and_or_b32 v68, v68, 15, 0x4b000000
	v_lshrrev_b32_e32 v223, 4, v70
	v_lshrrev_b32_e32 v224, 8, v70
	;; [unrolled: 1-line block ×3, first 2 shown]
	v_and_or_b32 v70, v70, 15, 0x4b000000
	v_and_or_b32 v67, v67, 15, 0x4b000000
	;; [unrolled: 1-line block ×5, first 2 shown]
	v_add_f32_e32 v229, 0xcb000008, v156
	v_lshrrev_b32_e32 v156, 4, v157
	v_lshrrev_b32_e32 v230, 8, v157
	;; [unrolled: 1-line block ×3, first 2 shown]
	v_add_f32_e32 v232, 0xcb000008, v155
	v_and_or_b32 v157, v157, 15, 0x4b000000
	v_and_or_b32 v156, v156, 15, 0x4b000000
	;; [unrolled: 1-line block ×3, first 2 shown]
	v_lshrrev_b32_e32 v158, 12, v162
	v_and_or_b32 v225, v225, 15, 0x4b000000
	s_delay_alu instid0(VALU_DEP_4)
	v_dual_add_f32 v233, 0xcb000008, v157 :: v_dual_add_f32 v234, 0xcb000008, v156
	v_and_or_b32 v156, v160, 15, 0x4b000000
	v_add_f32_e32 v236, 0xcb000008, v155
	v_lshrrev_b32_e32 v155, 4, v162
	v_and_or_b32 v157, v161, 15, 0x4b000000
	v_add_f32_e32 v235, 0xcb000008, v159
	v_add_f32_e32 v237, 0xcb000008, v156
	v_lshrrev_b32_e32 v156, 8, v162
	v_and_or_b32 v155, v155, 15, 0x4b000000
	v_add_f32_e32 v238, 0xcb000008, v157
	v_and_or_b32 v159, v162, 15, 0x4b000000
	v_and_or_b32 v157, v158, 15, 0x4b000000
	v_and_or_b32 v156, v156, 15, 0x4b000000
	v_add_f32_e32 v240, 0xcb000008, v155
	v_and_or_b32 v72, v72, 15, 0x4b000000
	v_lshrrev_b32_e32 v226, 4, v117
	v_lshrrev_b32_e32 v227, 8, v117
	v_add_f32_e32 v241, 0xcb000008, v156
	v_lshrrev_b32_e32 v228, 12, v117
	v_add_f32_e32 v69, 0xcb000008, v69
	v_and_or_b32 v71, v71, 15, 0x4b000000
	v_and_or_b32 v90, v90, 15, 0x4b000000
	v_dual_add_f32 v91, 0xcb000008, v91 :: v_dual_add_f32 v72, 0xcb000008, v72
	v_and_or_b32 v117, v117, 15, 0x4b000000
	v_and_or_b32 v226, v226, 15, 0x4b000000
	;; [unrolled: 1-line block ×8, first 2 shown]
	v_add_f32_e32 v66, 0xcb000008, v66
	v_dual_add_f32 v68, 0xcb000008, v68 :: v_dual_add_f32 v71, 0xcb000008, v71
	v_dual_add_f32 v90, 0xcb000008, v90 :: v_dual_add_f32 v117, 0xcb000008, v117
	;; [unrolled: 1-line block ×4, first 2 shown]
	v_add_f32_e32 v128, 0xcb000008, v128
	v_dual_add_f32 v230, 0xcb000008, v230 :: v_dual_add_f32 v231, 0xcb000008, v231
	v_dual_add_f32 v70, 0xcb000008, v70 :: v_dual_add_f32 v67, 0xcb000008, v67
	;; [unrolled: 1-line block ×3, first 2 shown]
	v_add_f32_e32 v225, 0xcb000008, v225
	s_waitcnt vmcnt(4)
	ds_load_b128 v[9:12], v0 offset:4096
	v_mov_b32_e32 v43, v0
	scratch_load_b32 v0, off, off offset:128 ; 4-byte Folded Reload
	s_waitcnt vmcnt(4)
	ds_load_b128 v[17:20], v77
	s_waitcnt vmcnt(3)
	ds_load_b128 v[139:142], v83
	;; [unrolled: 2-line block ×3, first 2 shown]
	v_mov_b32_e32 v101, v82
	scratch_load_b32 v82, off, off offset:152 ; 4-byte Folded Reload
	s_waitcnt lgkmcnt(3)
	v_lshrrev_b32_e32 v163, 4, v9
	v_lshrrev_b32_e32 v164, 8, v9
	v_lshrrev_b32_e32 v165, 12, v9
	v_and_or_b32 v166, v9, 15, 0x4b000000
	v_ashrrev_i32_e32 v167, 16, v9
	v_lshrrev_b32_e32 v168, 4, v10
	v_lshrrev_b32_e32 v169, 8, v10
	v_lshrrev_b32_e32 v170, 12, v10
	v_and_or_b32 v171, v10, 15, 0x4b000000
	v_ashrrev_i32_e32 v172, 16, v10
	;; [unrolled: 5-line block ×4, first 2 shown]
	ds_load_b128 v[9:12], v79 offset:4096
	v_and_or_b32 v156, v164, 15, 0x4b000000
	v_dual_add_f32 v239, 0xcb000008, v159 :: v_dual_add_f32 v164, 0xcb000008, v166
	v_and_or_b32 v155, v163, 15, 0x4b000000
	s_delay_alu instid0(VALU_DEP_3) | instskip(SKIP_4) | instid1(VALU_DEP_4)
	v_dual_add_f32 v163, 0xcb000008, v157 :: v_dual_add_f32 v166, 0xcb000008, v156
	v_lshrrev_b32_e32 v156, 8, v167
	v_and_or_b32 v157, v165, 15, 0x4b000000
	v_lshrrev_b32_e32 v158, 12, v167
	v_and_or_b32 v159, v167, 15, 0x4b000000
	v_and_or_b32 v156, v156, 15, 0x4b000000
	v_add_f32_e32 v165, 0xcb000008, v155
	v_lshrrev_b32_e32 v155, 4, v167
	s_delay_alu instid0(VALU_DEP_4) | instskip(SKIP_2) | instid1(VALU_DEP_4)
	v_dual_add_f32 v167, 0xcb000008, v157 :: v_dual_add_f32 v242, 0xcb000008, v159
	v_and_or_b32 v157, v158, 15, 0x4b000000
	v_add_f32_e32 v244, 0xcb000008, v156
	v_and_or_b32 v155, v155, 15, 0x4b000000
	v_and_or_b32 v156, v169, 15, 0x4b000000
	v_lshrrev_b32_e32 v158, 12, v172
	v_and_or_b32 v159, v172, 15, 0x4b000000
	s_delay_alu instid0(VALU_DEP_4) | instskip(SKIP_4) | instid1(VALU_DEP_4)
	v_add_f32_e32 v243, 0xcb000008, v155
	v_and_or_b32 v155, v168, 15, 0x4b000000
	v_add_f32_e32 v168, 0xcb000008, v157
	v_and_or_b32 v157, v170, 15, 0x4b000000
	v_add_f32_e32 v169, 0xcb000008, v171
	v_dual_add_f32 v171, 0xcb000008, v156 :: v_dual_add_f32 v170, 0xcb000008, v155
	v_lshrrev_b32_e32 v155, 4, v172
	v_lshrrev_b32_e32 v156, 8, v172
	v_add_f32_e32 v172, 0xcb000008, v157
	v_and_or_b32 v157, v158, 15, 0x4b000000
	v_add_f32_e32 v245, 0xcb000008, v159
	v_and_or_b32 v155, v155, 15, 0x4b000000
	v_and_or_b32 v156, v156, 15, 0x4b000000
	v_lshrrev_b32_e32 v158, 12, v177
	v_and_or_b32 v159, v177, 15, 0x4b000000
	s_delay_alu instid0(VALU_DEP_3) | instskip(SKIP_4) | instid1(VALU_DEP_4)
	v_dual_add_f32 v246, 0xcb000008, v155 :: v_dual_add_f32 v247, 0xcb000008, v156
	v_and_or_b32 v156, v174, 15, 0x4b000000
	v_and_or_b32 v155, v173, 15, 0x4b000000
	v_dual_add_f32 v173, 0xcb000008, v157 :: v_dual_add_f32 v174, 0xcb000008, v176
	v_and_or_b32 v157, v175, 15, 0x4b000000
	v_add_f32_e32 v176, 0xcb000008, v156
	v_lshrrev_b32_e32 v156, 8, v177
	v_add_f32_e32 v248, 0xcb000008, v159
	v_and_or_b32 v159, v182, 15, 0x4b000000
	s_delay_alu instid0(VALU_DEP_3)
	v_and_or_b32 v156, v156, 15, 0x4b000000
	v_add_f32_e32 v175, 0xcb000008, v155
	v_lshrrev_b32_e32 v155, 4, v177
	v_add_f32_e32 v177, 0xcb000008, v157
	v_and_or_b32 v157, v158, 15, 0x4b000000
	v_add_f32_e32 v250, 0xcb000008, v156
	v_and_or_b32 v156, v179, 15, 0x4b000000
	v_and_or_b32 v155, v155, 15, 0x4b000000
	v_lshrrev_b32_e32 v158, 12, v182
	s_delay_alu instid0(VALU_DEP_2) | instskip(SKIP_4) | instid1(VALU_DEP_4)
	v_add_f32_e32 v249, 0xcb000008, v155
	v_and_or_b32 v155, v178, 15, 0x4b000000
	v_add_f32_e32 v178, 0xcb000008, v157
	v_and_or_b32 v157, v180, 15, 0x4b000000
	v_add_f32_e32 v179, 0xcb000008, v181
	v_dual_add_f32 v181, 0xcb000008, v156 :: v_dual_add_f32 v180, 0xcb000008, v155
	v_lshrrev_b32_e32 v155, 4, v182
	v_lshrrev_b32_e32 v156, 8, v182
	v_add_f32_e32 v182, 0xcb000008, v157
	v_and_or_b32 v157, v158, 15, 0x4b000000
	s_delay_alu instid0(VALU_DEP_4) | instskip(NEXT) | instid1(VALU_DEP_4)
	v_and_or_b32 v155, v155, 15, 0x4b000000
	v_and_or_b32 v156, v156, 15, 0x4b000000
	s_delay_alu instid0(VALU_DEP_1)
	v_dual_add_f32 v252, 0xcb000008, v155 :: v_dual_add_f32 v253, 0xcb000008, v156
	s_waitcnt vmcnt(1)
	ds_load_b128 v[13:16], v0 offset:4096
	v_mov_b32_e32 v44, v0
	scratch_load_b32 v0, off, off offset:120 ; 4-byte Folded Reload
	s_waitcnt lgkmcnt(0)
	v_lshrrev_b32_e32 v183, 4, v13
	v_lshrrev_b32_e32 v184, 8, v13
	;; [unrolled: 1-line block ×3, first 2 shown]
	v_and_or_b32 v186, v13, 15, 0x4b000000
	v_ashrrev_i32_e32 v187, 16, v13
	v_and_or_b32 v155, v183, 15, 0x4b000000
	v_and_or_b32 v156, v184, 15, 0x4b000000
	s_delay_alu instid0(VALU_DEP_4) | instskip(SKIP_2) | instid1(VALU_DEP_4)
	v_dual_add_f32 v251, 0xcb000008, v159 :: v_dual_add_f32 v184, 0xcb000008, v186
	v_add_f32_e32 v183, 0xcb000008, v157
	v_and_or_b32 v157, v185, 15, 0x4b000000
	v_dual_add_f32 v186, 0xcb000008, v156 :: v_dual_add_f32 v185, 0xcb000008, v155
	v_lshrrev_b32_e32 v155, 4, v187
	v_lshrrev_b32_e32 v156, 8, v187
	;; [unrolled: 1-line block ×4, first 2 shown]
	v_and_or_b32 v191, v14, 15, 0x4b000000
	v_and_or_b32 v155, v155, 15, 0x4b000000
	;; [unrolled: 1-line block ×3, first 2 shown]
	v_ashrrev_i32_e32 v192, 16, v14
	v_lshrrev_b32_e32 v158, 12, v187
	v_and_or_b32 v159, v187, 15, 0x4b000000
	v_add_f32_e32 v255, 0xcb000008, v155
	v_and_or_b32 v155, v188, 15, 0x4b000000
	v_add_f32_e32 v95, 0xcb000008, v156
	v_and_or_b32 v156, v189, 15, 0x4b000000
	v_lshrrev_b32_e32 v190, 12, v14
	v_dual_add_f32 v187, 0xcb000008, v157 :: v_dual_add_f32 v254, 0xcb000008, v159
	v_and_or_b32 v157, v158, 15, 0x4b000000
	v_add_f32_e32 v189, 0xcb000008, v191
	v_and_or_b32 v159, v192, 15, 0x4b000000
	v_add_f32_e32 v191, 0xcb000008, v156
	v_lshrrev_b32_e32 v156, 8, v192
	v_lshrrev_b32_e32 v194, 8, v15
	v_add_f32_e32 v188, 0xcb000008, v157
	v_add_f32_e32 v96, 0xcb000008, v159
	v_and_or_b32 v157, v190, 15, 0x4b000000
	v_add_f32_e32 v190, 0xcb000008, v155
	v_lshrrev_b32_e32 v155, 4, v192
	v_lshrrev_b32_e32 v158, 12, v192
	v_and_or_b32 v156, v156, 15, 0x4b000000
	v_lshrrev_b32_e32 v193, 4, v15
	v_and_or_b32 v196, v15, 15, 0x4b000000
	v_ashrrev_i32_e32 v197, 16, v15
	v_and_or_b32 v155, v155, 15, 0x4b000000
	v_add_f32_e32 v192, 0xcb000008, v157
	v_and_or_b32 v157, v158, 15, 0x4b000000
	v_add_f32_e32 v122, 0xcb000008, v156
	v_and_or_b32 v156, v194, 15, 0x4b000000
	v_lshrrev_b32_e32 v195, 12, v15
	v_dual_add_f32 v93, 0xcb000008, v155 :: v_dual_add_f32 v194, 0xcb000008, v196
	v_and_or_b32 v155, v193, 15, 0x4b000000
	s_delay_alu instid0(VALU_DEP_4)
	v_dual_add_f32 v193, 0xcb000008, v157 :: v_dual_add_f32 v196, 0xcb000008, v156
	v_lshrrev_b32_e32 v156, 8, v197
	v_and_or_b32 v157, v195, 15, 0x4b000000
	v_lshrrev_b32_e32 v198, 4, v16
	v_lshrrev_b32_e32 v199, 8, v16
	;; [unrolled: 1-line block ×3, first 2 shown]
	v_and_or_b32 v156, v156, 15, 0x4b000000
	v_add_f32_e32 v195, 0xcb000008, v155
	v_lshrrev_b32_e32 v155, 4, v197
	v_lshrrev_b32_e32 v200, 12, v16
	v_and_or_b32 v201, v16, 15, 0x4b000000
	v_add_f32_e32 v124, 0xcb000008, v156
	v_ashrrev_i32_e32 v202, 16, v16
	v_and_or_b32 v155, v155, 15, 0x4b000000
	v_and_or_b32 v158, v158, 15, 0x4b000000
	;; [unrolled: 1-line block ×4, first 2 shown]
	v_add_f32_e32 v197, 0xcb000008, v157
	v_add_f32_e32 v123, 0xcb000008, v155
	v_and_or_b32 v155, v198, 15, 0x4b000000
	v_add_f32_e32 v198, 0xcb000008, v158
	v_and_or_b32 v157, v200, 15, 0x4b000000
	v_add_f32_e32 v199, 0xcb000008, v201
	s_delay_alu instid0(VALU_DEP_4) | instskip(SKIP_3) | instid1(VALU_DEP_3)
	v_dual_add_f32 v201, 0xcb000008, v156 :: v_dual_add_f32 v200, 0xcb000008, v155
	v_lshrrev_b32_e32 v155, 4, v202
	v_lshrrev_b32_e32 v156, 8, v202
	;; [unrolled: 1-line block ×3, first 2 shown]
	v_and_or_b32 v155, v155, 15, 0x4b000000
	s_delay_alu instid0(VALU_DEP_3) | instskip(NEXT) | instid1(VALU_DEP_1)
	v_and_or_b32 v156, v156, 15, 0x4b000000
	v_dual_add_f32 v94, 0xcb000008, v155 :: v_dual_add_f32 v97, 0xcb000008, v156
	s_waitcnt vmcnt(0)
	ds_load_b128 v[62:65], v0
	v_mov_b32_e32 v42, v0
	scratch_load_b32 v0, off, off offset:160 ; 4-byte Folded Reload
	ds_load_b128 v[135:138], v82
	s_waitcnt vmcnt(0)
	ds_load_b128 v[143:146], v0
	v_mov_b32_e32 v111, v0
	scratch_load_b32 v0, off, off offset:164 ; 4-byte Folded Reload
	v_lshrrev_b32_e32 v203, 4, v9
	v_lshrrev_b32_e32 v204, 8, v9
	v_lshrrev_b32_e32 v205, 12, v9
	v_and_or_b32 v206, v9, 15, 0x4b000000
	v_ashrrev_i32_e32 v207, 16, v9
	v_lshrrev_b32_e32 v208, 4, v10
	v_lshrrev_b32_e32 v209, 8, v10
	v_lshrrev_b32_e32 v210, 12, v10
	v_and_or_b32 v211, v10, 15, 0x4b000000
	v_ashrrev_i32_e32 v212, 16, v10
	;; [unrolled: 5-line block ×4, first 2 shown]
	v_and_or_b32 v155, v203, 15, 0x4b000000
	v_and_or_b32 v156, v204, 15, 0x4b000000
	v_add_f32_e32 v204, 0xcb000008, v206
	s_delay_alu instid0(VALU_DEP_2) | instskip(SKIP_1) | instid1(VALU_DEP_1)
	v_add_f32_e32 v206, 0xcb000008, v156
	v_lshrrev_b32_e32 v156, 8, v207
	v_and_or_b32 v156, v156, 15, 0x4b000000
	s_waitcnt vmcnt(0)
	ds_load_b128 v[147:150], v0
	v_mov_b32_e32 v112, v0
	scratch_load_b32 v0, off, off offset:168 ; 4-byte Folded Reload
	s_waitcnt vmcnt(0)
	ds_load_b128 v[151:154], v0
	v_mov_b32_e32 v113, v0
	scratch_load_b32 v0, off, off offset:172 ; 4-byte Folded Reload
	;; [unrolled: 4-line block ×7, first 2 shown]
	s_waitcnt vmcnt(0)
	ds_load_b128 v[13:16], v0
	v_mov_b32_e32 v84, v0
	v_add_f32_e32 v0, 0xcb000008, v159
	v_and_or_b32 v159, v202, 15, 0x4b000000
	v_add_f32_e32 v202, 0xcb000008, v157
	v_and_or_b32 v157, v158, 15, 0x4b000000
	v_lshrrev_b32_e32 v158, 12, v207
	s_delay_alu instid0(VALU_DEP_4) | instskip(SKIP_1) | instid1(VALU_DEP_4)
	v_add_f32_e32 v125, 0xcb000008, v159
	v_and_or_b32 v159, v207, 15, 0x4b000000
	v_add_f32_e32 v203, 0xcb000008, v157
	v_and_or_b32 v157, v205, 15, 0x4b000000
	v_add_f32_e32 v205, 0xcb000008, v155
	v_lshrrev_b32_e32 v155, 4, v207
	v_add_f32_e32 v98, 0xcb000008, v159
	v_and_or_b32 v159, v212, 15, 0x4b000000
	v_add_f32_e32 v207, 0xcb000008, v157
	v_and_or_b32 v157, v158, 15, 0x4b000000
	v_and_or_b32 v155, v155, 15, 0x4b000000
	v_lshrrev_b32_e32 v158, 12, v212
	v_add_f32_e32 v100, 0xcb000008, v159
	v_and_or_b32 v159, v217, 15, 0x4b000000
	s_delay_alu instid0(VALU_DEP_4)
	v_add_f32_e32 v99, 0xcb000008, v155
	v_and_or_b32 v155, v208, 15, 0x4b000000
	v_add_f32_e32 v121, 0xcb000008, v156
	v_and_or_b32 v156, v209, 15, 0x4b000000
	;; [unrolled: 2-line block ×3, first 2 shown]
	v_add_f32_e32 v210, 0xcb000008, v155
	v_add_f32_e32 v209, 0xcb000008, v211
	;; [unrolled: 1-line block ×3, first 2 shown]
	v_lshrrev_b32_e32 v155, 4, v212
	v_lshrrev_b32_e32 v156, 8, v212
	v_add_f32_e32 v212, 0xcb000008, v157
	v_and_or_b32 v157, v158, 15, 0x4b000000
	v_lshrrev_b32_e32 v158, 12, v217
	v_and_or_b32 v155, v155, 15, 0x4b000000
	v_and_or_b32 v156, v156, 15, 0x4b000000
	v_add_f32_e32 v104, 0xcb000008, v159
	v_and_or_b32 v159, v222, 15, 0x4b000000
	s_delay_alu instid0(VALU_DEP_3) | instskip(SKIP_4) | instid1(VALU_DEP_4)
	v_dual_add_f32 v102, 0xcb000008, v155 :: v_dual_add_f32 v103, 0xcb000008, v156
	v_and_or_b32 v156, v214, 15, 0x4b000000
	v_and_or_b32 v155, v213, 15, 0x4b000000
	v_dual_add_f32 v213, 0xcb000008, v157 :: v_dual_add_f32 v214, 0xcb000008, v216
	v_and_or_b32 v157, v215, 15, 0x4b000000
	v_add_f32_e32 v216, 0xcb000008, v156
	v_lshrrev_b32_e32 v156, 8, v217
	s_delay_alu instid0(VALU_DEP_1)
	v_and_or_b32 v156, v156, 15, 0x4b000000
	v_add_f32_e32 v215, 0xcb000008, v155
	v_lshrrev_b32_e32 v155, 4, v217
	v_add_f32_e32 v217, 0xcb000008, v157
	v_and_or_b32 v157, v158, 15, 0x4b000000
	v_add_f32_e32 v106, 0xcb000008, v156
	v_and_or_b32 v156, v219, 15, 0x4b000000
	v_and_or_b32 v155, v155, 15, 0x4b000000
	v_lshrrev_b32_e32 v158, 12, v222
	s_delay_alu instid0(VALU_DEP_2) | instskip(SKIP_4) | instid1(VALU_DEP_4)
	v_add_f32_e32 v105, 0xcb000008, v155
	v_and_or_b32 v155, v218, 15, 0x4b000000
	v_add_f32_e32 v218, 0xcb000008, v157
	v_and_or_b32 v157, v220, 15, 0x4b000000
	v_add_f32_e32 v219, 0xcb000008, v221
	v_dual_add_f32 v221, 0xcb000008, v156 :: v_dual_add_f32 v220, 0xcb000008, v155
	v_lshrrev_b32_e32 v155, 4, v222
	v_lshrrev_b32_e32 v156, 8, v222
	v_add_f32_e32 v222, 0xcb000008, v157
	v_and_or_b32 v158, v158, 15, 0x4b000000
	v_add_f32_e32 v107, 0xcb000008, v159
	v_and_or_b32 v155, v155, 15, 0x4b000000
	v_and_or_b32 v156, v156, 15, 0x4b000000
	s_delay_alu instid0(VALU_DEP_4) | instskip(NEXT) | instid1(VALU_DEP_2)
	v_add_f32_e32 v110, 0xcb000008, v158
	v_dual_add_f32 v108, 0xcb000008, v155 :: v_dual_add_f32 v109, 0xcb000008, v156
	; sched_barrier mask(0x00000000)
	s_waitcnt lgkmcnt(0)
	s_barrier
	; sched_barrier mask(0x00000000)
	v_perm_b32 v155, v69, v66, 0x7060302
	v_perm_b32 v156, v67, v68, 0x7060302
	;; [unrolled: 1-line block ×8, first 2 shown]
	v_mov_b32_e32 v70, v41
	s_delay_alu instid0(VALU_DEP_2)
	v_wmma_f32_16x16x16_bf16 v[1:8], v[58:65], v[155:162], v[1:8]
	v_perm_b32 v63, v237, v238, 0x7060302
	v_perm_b32 v62, v235, v236, 0x7060302
	;; [unrolled: 1-line block ×8, first 2 shown]
	s_delay_alu instid0(VALU_DEP_1)
	v_wmma_f32_16x16x16_bf16 v[1:8], v[131:138], v[58:65], v[1:8]
	; sched_barrier mask(0x00000000)
	s_setprio 1
	; sched_barrier mask(0x00000000)
	v_perm_b32 v58, v164, v165, 0x7060302
	v_perm_b32 v59, v166, v167, 0x7060302
	v_perm_b32 v60, v242, v243, 0x7060302
	v_perm_b32 v61, v244, v168, 0x7060302
	v_perm_b32 v62, v169, v170, 0x7060302
	v_perm_b32 v63, v171, v172, 0x7060302
	v_perm_b32 v64, v245, v246, 0x7060302
	v_perm_b32 v65, v247, v173, 0x7060302
	v_perm_b32 v136, v181, v182, 0x7060302
	v_perm_b32 v135, v179, v180, 0x7060302
	v_perm_b32 v132, v176, v177, 0x7060302
	v_perm_b32 v131, v174, v175, 0x7060302
	v_perm_b32 v137, v251, v252, 0x7060302
	v_perm_b32 v134, v250, v178, 0x7060302
	v_perm_b32 v133, v248, v249, 0x7060302
	v_perm_b32 v138, v253, v183, 0x7060302
	v_wmma_f32_16x16x16_bf16 v[1:8], v[139:146], v[58:65], v[1:8]
	v_perm_b32 v58, v184, v185, 0x7060302
	v_perm_b32 v59, v186, v187, 0x7060302
	v_perm_b32 v60, v254, v255, 0x7060302
	v_perm_b32 v61, v95, v188, 0x7060302
	v_wmma_f32_16x16x16_bf16 v[1:8], v[147:154], v[131:138], v[1:8]
	v_perm_b32 v62, v189, v190, 0x7060302
	v_perm_b32 v63, v191, v192, 0x7060302
	;; [unrolled: 1-line block ×12, first 2 shown]
	v_wmma_f32_16x16x16_bf16 v[1:8], v[33:40], v[58:65], v[1:8]
	v_perm_b32 v38, v221, v222, 0x7060302
	v_perm_b32 v37, v219, v220, 0x7060302
	;; [unrolled: 1-line block ×4, first 2 shown]
	v_wmma_f32_16x16x16_bf16 v[1:8], v[25:32], v[131:138], v[1:8]
	v_perm_b32 v25, v204, v205, 0x7060302
	v_perm_b32 v26, v206, v207, 0x7060302
	v_perm_b32 v27, v98, v99, 0x7060302
	v_perm_b32 v28, v121, v208, 0x7060302
	v_perm_b32 v29, v209, v210, 0x7060302
	v_perm_b32 v30, v211, v212, 0x7060302
	v_perm_b32 v31, v100, v102, 0x7060302
	v_perm_b32 v32, v103, v213, 0x7060302
	v_perm_b32 v39, v107, v108, 0x7060302
	v_perm_b32 v36, v106, v218, 0x7060302
	v_perm_b32 v35, v104, v105, 0x7060302
	v_perm_b32 v40, v109, v110, 0x7060302
	; sched_barrier mask(0x00000000)
	s_waitcnt lgkmcnt(0)
	s_barrier
	; sched_barrier mask(0x00000000)
	v_wmma_f32_16x16x16_bf16 v[1:8], v[17:24], v[25:32], v[1:8]
	s_delay_alu instid0(VALU_DEP_1)
	v_wmma_f32_16x16x16_bf16 v[1:8], v[9:16], v[33:40], v[1:8]
	; sched_barrier mask(0x00000000)
	s_setprio 0
	; sched_barrier mask(0x00000000)
	s_clause 0x1
	scratch_load_b32 v19, off, off offset:144
	scratch_load_b32 v9, off, off offset:208
	v_dual_mov_b32 v35, v43 :: v_dual_lshlrev_b32 v0, 1, v57
	s_clause 0x1
	scratch_load_b32 v10, off, off offset:216
	scratch_load_b32 v12, off, off offset:204
	v_mov_b32_e32 v63, v44
	ds_store_b128 v0, v[53:56]
	v_ashrrev_i32_e32 v0, 31, v120
	v_mov_b32_e32 v65, v113
	v_lshrrev_b32_e32 v11, 31, v89
	v_mov_b32_e32 v66, v114
	v_add_nc_u32_e64 v58, 4, s24
	v_lshrrev_b32_e32 v0, 28, v0
	v_mov_b32_e32 v69, v77
	v_add_nc_u32_e32 v11, v89, v11
	v_mov_b32_e32 v71, v78
	s_delay_alu instid0(VALU_DEP_4) | instskip(SKIP_1) | instid1(VALU_DEP_4)
	v_dual_mov_b32 v131, v111 :: v_dual_add_nc_u32 v0, v120, v0
	v_mov_b32_e32 v117, v81
	v_ashrrev_i32_e32 v11, 1, v11
	v_dual_mov_b32 v133, v112 :: v_dual_mov_b32 v62, v79
	s_delay_alu instid0(VALU_DEP_4) | instskip(SKIP_1) | instid1(VALU_DEP_2)
	v_dual_mov_b32 v67, v116 :: v_dual_and_b32 v0, -16, v0
	v_dual_mov_b32 v68, v115 :: v_dual_mov_b32 v119, v84
	v_sub_nc_u32_e32 v0, v120, v0
	s_waitcnt vmcnt(3)
	s_delay_alu instid0(VALU_DEP_1)
	v_xor_b32_e32 v36, v0, v19
	scratch_load_b32 v0, off, off           ; 4-byte Folded Reload
	s_waitcnt vmcnt(2)
	v_add_nc_u32_e32 v10, v130, v10
	s_waitcnt vmcnt(1)
	v_add_nc_u32_e32 v64, v12, v127
	v_add_nc_u32_e32 v90, v12, v126
	s_delay_alu instid0(VALU_DEP_3) | instskip(NEXT) | instid1(VALU_DEP_3)
	v_lshrrev_b32_e32 v12, 31, v10
	v_add_nc_u32_e32 v13, 0xfffffe00, v64
	s_delay_alu instid0(VALU_DEP_2) | instskip(NEXT) | instid1(VALU_DEP_1)
	v_add_nc_u32_e32 v12, v10, v12
	v_ashrrev_i32_e32 v61, 1, v12
	s_waitcnt vmcnt(0)
	v_sub_nc_u32_e32 v0, v36, v0
	s_delay_alu instid0(VALU_DEP_1) | instskip(NEXT) | instid1(VALU_DEP_1)
	v_lshlrev_b32_e32 v0, 3, v0
	v_add3_u32 v9, v57, v9, v0
	v_lshrrev_b32_e32 v0, 31, v130
	s_delay_alu instid0(VALU_DEP_2) | instskip(NEXT) | instid1(VALU_DEP_2)
	v_lshlrev_b32_e32 v37, 1, v9
	v_add_nc_u32_e32 v0, v130, v0
	ds_store_b128 v37, v[49:52]
	v_ashrrev_i32_e32 v0, 1, v0
	ds_store_b128 v0, v[45:48] offset:4096
	v_add_nc_u32_e32 v0, 0x80, v89
	ds_store_b128 v61, v[73:76] offset:4096
	v_mov_b32_e32 v73, v42
	v_lshrrev_b32_e32 v12, 31, v0
	s_delay_alu instid0(VALU_DEP_1)
	v_add_nc_u32_e32 v0, v0, v12
	buffer_load_b128 v[12:15], v13, s[0:3], 0 offen
	v_ashrrev_i32_e32 v0, 1, v0
	s_waitcnt vmcnt(0)
	scratch_store_b128 off, v[12:15], off offset:4 ; 16-byte Folded Spill
	buffer_load_b128 v[11:14], v11, s[12:15], 0 offen
	s_waitcnt vmcnt(0)
	scratch_store_b128 off, v[11:14], off offset:20 ; 16-byte Folded Spill
	buffer_load_b128 v[11:14], v0, s[12:15], 0 offen
	s_waitcnt vmcnt(0)
	scratch_store_b128 off, v[11:14], off offset:36 ; 16-byte Folded Spill
	buffer_load_b128 v[11:14], v90, s[0:3], 0 offen offset:768
	s_waitcnt vmcnt(0)
	scratch_store_b128 off, v[11:14], off offset:52 ; 16-byte Folded Spill
	s_waitcnt lgkmcnt(0)
	s_waitcnt_vscnt null, 0x0
	s_barrier
	ds_load_b128 v[11:14], v80 offset:4096
	ds_load_b128 v[38:41], v129
	ds_load_b128 v[15:18], v44 offset:4096
	ds_load_b128 v[46:49], v101
	s_waitcnt lgkmcnt(3)
	v_and_or_b32 v0, v11, 15, 0x4b000000
	v_lshrrev_b32_e32 v54, 4, v11
	v_lshrrev_b32_e32 v55, 8, v11
	v_lshrrev_b32_e32 v56, 12, v11
	v_ashrrev_i32_e32 v91, 16, v11
	v_and_or_b32 v93, v12, 15, 0x4b000000
	v_lshrrev_b32_e32 v94, 4, v12
	v_lshrrev_b32_e32 v95, 8, v12
	;; [unrolled: 1-line block ×3, first 2 shown]
	v_ashrrev_i32_e32 v97, 16, v12
	v_add_f32_e32 v93, 0xcb000008, v93
	v_and_or_b32 v98, v13, 15, 0x4b000000
	v_lshrrev_b32_e32 v99, 4, v13
	v_lshrrev_b32_e32 v100, 8, v13
	;; [unrolled: 1-line block ×3, first 2 shown]
	v_ashrrev_i32_e32 v103, 16, v13
	v_and_or_b32 v104, v14, 15, 0x4b000000
	v_lshrrev_b32_e32 v105, 4, v14
	v_lshrrev_b32_e32 v106, 8, v14
	v_lshrrev_b32_e32 v107, 12, v14
	v_ashrrev_i32_e32 v108, 16, v14
	ds_load_b128 v[11:14], v43 offset:4096
	ds_load_b128 v[42:45], v42
	s_waitcnt lgkmcnt(3)
	v_and_or_b32 v169, v15, 15, 0x4b000000
	v_ashrrev_i32_e32 v173, 16, v15
	v_ashrrev_i32_e32 v178, 16, v16
	v_and_or_b32 v179, v17, 15, 0x4b000000
	v_lshrrev_b32_e32 v180, 4, v17
	v_lshrrev_b32_e32 v181, 8, v17
	;; [unrolled: 1-line block ×3, first 2 shown]
	v_ashrrev_i32_e32 v183, 16, v17
	v_and_or_b32 v184, v18, 15, 0x4b000000
	v_lshrrev_b32_e32 v185, 4, v18
	v_lshrrev_b32_e32 v186, 8, v18
	;; [unrolled: 1-line block ×3, first 2 shown]
	v_ashrrev_i32_e32 v188, 16, v18
	v_lshrrev_b32_e32 v170, 4, v15
	v_lshrrev_b32_e32 v171, 8, v15
	v_lshrrev_b32_e32 v172, 12, v15
	v_and_or_b32 v174, v16, 15, 0x4b000000
	v_lshrrev_b32_e32 v175, 4, v16
	s_waitcnt lgkmcnt(1)
	v_and_or_b32 v109, v11, 15, 0x4b000000
	v_lshrrev_b32_e32 v110, 4, v11
	v_lshrrev_b32_e32 v121, 8, v11
	v_lshrrev_b32_e32 v122, 12, v11
	v_ashrrev_i32_e32 v123, 16, v11
	v_and_or_b32 v124, v12, 15, 0x4b000000
	v_lshrrev_b32_e32 v125, 4, v12
	v_lshrrev_b32_e32 v128, 8, v12
	v_lshrrev_b32_e32 v132, 12, v12
	v_ashrrev_i32_e32 v158, 16, v12
	;; [unrolled: 5-line block ×4, first 2 shown]
	ds_load_b128 v[11:14], v79 offset:4096
	v_add_f32_e32 v109, 0xcb000008, v109
	v_lshrrev_b32_e32 v176, 8, v16
	v_lshrrev_b32_e32 v177, 12, v16
	v_and_or_b32 v55, v55, 15, 0x4b000000
	v_and_or_b32 v210, v97, 15, 0x4b000000
	v_lshrrev_b32_e32 v211, 4, v97
	v_lshrrev_b32_e32 v212, 8, v97
	;; [unrolled: 1-line block ×3, first 2 shown]
	v_and_or_b32 v100, v100, 15, 0x4b000000
	v_and_or_b32 v102, v102, 15, 0x4b000000
	;; [unrolled: 1-line block ×4, first 2 shown]
	v_lshrrev_b32_e32 v220, 4, v123
	v_lshrrev_b32_e32 v221, 8, v123
	v_lshrrev_b32_e32 v123, 12, v123
	v_and_or_b32 v132, v132, 15, 0x4b000000
	v_and_or_b32 v160, v160, 15, 0x4b000000
	v_and_or_b32 v161, v161, 15, 0x4b000000
	v_and_or_b32 v162, v162, 15, 0x4b000000
	s_waitcnt lgkmcnt(0)
	v_and_or_b32 v189, v11, 15, 0x4b000000
	v_lshrrev_b32_e32 v190, 4, v11
	v_lshrrev_b32_e32 v191, 8, v11
	;; [unrolled: 1-line block ×3, first 2 shown]
	v_ashrrev_i32_e32 v193, 16, v11
	v_sub_nc_u32_e32 v11, v58, v92
	v_and_or_b32 v194, v12, 15, 0x4b000000
	v_lshrrev_b32_e32 v195, 4, v12
	v_lshrrev_b32_e32 v196, 8, v12
	;; [unrolled: 1-line block ×3, first 2 shown]
	v_mad_u64_u32 v[33:34], null, v11, s8, v[89:90]
	v_add_nc_u32_e32 v11, -1, v120
	v_ashrrev_i32_e32 v198, 16, v12
	v_ashrrev_i32_e32 v203, 16, v13
	;; [unrolled: 1-line block ×3, first 2 shown]
	v_and_or_b32 v199, v13, 15, 0x4b000000
	v_ashrrev_i32_e32 v12, 31, v11
	v_lshrrev_b32_e32 v200, 4, v13
	v_lshrrev_b32_e32 v201, 8, v13
	;; [unrolled: 1-line block ×3, first 2 shown]
	v_and_or_b32 v204, v14, 15, 0x4b000000
	v_lshrrev_b32_e32 v12, 28, v12
	v_lshrrev_b32_e32 v205, 4, v14
	;; [unrolled: 1-line block ×5, first 2 shown]
	v_add_nc_u32_e32 v12, v11, v12
	v_lshrrev_b32_e32 v226, 4, v163
	v_lshrrev_b32_e32 v227, 8, v163
	v_and_or_b32 v165, v165, 15, 0x4b000000
	v_dual_add_f32 v228, 0xcb000008, v164 :: v_dual_add_f32 v55, 0xcb000008, v55
	v_and_b32_e32 v12, -16, v12
	v_and_or_b32 v164, v168, 15, 0x4b000000
	v_lshrrev_b32_e32 v229, 4, v168
	v_lshrrev_b32_e32 v230, 8, v168
	;; [unrolled: 1-line block ×3, first 2 shown]
	v_sub_nc_u32_e32 v11, v11, v12
	scratch_load_b32 v12, off, off offset:220 ; 4-byte Folded Reload
	v_and_or_b32 v231, v173, 15, 0x4b000000
	v_lshrrev_b32_e32 v232, 4, v173
	v_lshrrev_b32_e32 v233, 8, v173
	v_xor_b32_e32 v57, v11, v19
	v_and_or_b32 v234, v178, 15, 0x4b000000
	v_lshrrev_b32_e32 v235, 4, v178
	v_lshrrev_b32_e32 v236, 8, v178
	v_and_or_b32 v237, v183, 15, 0x4b000000
	v_lshrrev_b32_e32 v238, 4, v183
	v_lshrrev_b32_e32 v239, 8, v183
	v_and_or_b32 v240, v188, 15, 0x4b000000
	v_lshrrev_b32_e32 v241, 4, v188
	v_lshrrev_b32_e32 v242, 8, v188
	v_and_or_b32 v243, v193, 15, 0x4b000000
	v_lshrrev_b32_e32 v244, 4, v193
	v_lshrrev_b32_e32 v245, 8, v193
	v_and_or_b32 v246, v198, 15, 0x4b000000
	v_lshrrev_b32_e32 v247, 4, v198
	v_lshrrev_b32_e32 v248, 8, v198
	v_and_or_b32 v249, v203, 15, 0x4b000000
	v_lshrrev_b32_e32 v250, 4, v203
	v_lshrrev_b32_e32 v251, 8, v203
	v_lshrrev_b32_e32 v253, 4, v208
	v_lshrrev_b32_e32 v254, 8, v208
	v_and_or_b32 v54, v54, 15, 0x4b000000
	v_and_or_b32 v56, v56, 15, 0x4b000000
	;; [unrolled: 1-line block ×3, first 2 shown]
	v_lshrrev_b32_e32 v209, 8, v91
	v_lshrrev_b32_e32 v91, 12, v91
	v_and_or_b32 v213, v103, 15, 0x4b000000
	v_lshrrev_b32_e32 v214, 4, v103
	v_lshrrev_b32_e32 v215, 8, v103
	v_lshrrev_b32_e32 v103, 12, v103
	v_and_or_b32 v216, v108, 15, 0x4b000000
	v_lshrrev_b32_e32 v217, 4, v108
	;; [unrolled: 4-line block ×3, first 2 shown]
	v_lshrrev_b32_e32 v224, 8, v158
	v_lshrrev_b32_e32 v158, 12, v158
	;; [unrolled: 1-line block ×5, first 2 shown]
	v_and_or_b32 v185, v185, 15, 0x4b000000
	v_lshrrev_b32_e32 v188, 12, v188
	v_and_or_b32 v191, v191, 15, 0x4b000000
	v_lshrrev_b32_e32 v193, 12, v193
	v_lshrrev_b32_e32 v198, 12, v198
	;; [unrolled: 1-line block ×3, first 2 shown]
	v_and_or_b32 v252, v208, 15, 0x4b000000
	v_lshrrev_b32_e32 v208, 12, v208
	v_and_or_b32 v92, v92, 15, 0x4b000000
	v_and_or_b32 v97, v97, 15, 0x4b000000
	v_add_f32_e32 v100, 0xcb000008, v100
	v_dual_add_f32 v102, 0xcb000008, v102 :: v_dual_add_f32 v255, 0xcb000008, v160
	v_add_f32_e32 v106, 0xcb000008, v106
	v_and_or_b32 v123, v123, 15, 0x4b000000
	v_add_f32_e32 v132, 0xcb000008, v132
	v_and_or_b32 v160, v226, 15, 0x4b000000
	v_and_or_b32 v94, v94, 15, 0x4b000000
	;; [unrolled: 1-line block ×20, first 2 shown]
	v_dual_add_f32 v174, 0xcb000008, v174 :: v_dual_add_f32 v89, 0xcb000008, v89
	v_and_or_b32 v180, v180, 15, 0x4b000000
	v_and_or_b32 v181, v181, 15, 0x4b000000
	v_and_or_b32 v182, v182, 15, 0x4b000000
	v_and_or_b32 v186, v186, 15, 0x4b000000
	v_and_or_b32 v187, v187, 15, 0x4b000000
	v_and_or_b32 v190, v190, 15, 0x4b000000
	v_and_or_b32 v192, v192, 15, 0x4b000000
	v_and_or_b32 v195, v195, 15, 0x4b000000
	v_and_or_b32 v196, v196, 15, 0x4b000000
	v_and_or_b32 v197, v197, 15, 0x4b000000
	v_and_or_b32 v200, v200, 15, 0x4b000000
	v_and_or_b32 v201, v201, 15, 0x4b000000
	v_and_or_b32 v202, v202, 15, 0x4b000000
	v_and_or_b32 v205, v205, 15, 0x4b000000
	v_and_or_b32 v206, v206, 15, 0x4b000000
	v_and_or_b32 v207, v207, 15, 0x4b000000
	v_dual_add_f32 v54, 0xcb000008, v54 :: v_dual_add_f32 v105, 0xcb000008, v105
	v_dual_add_f32 v56, 0xcb000008, v56 :: v_dual_add_f32 v107, 0xcb000008, v107
	v_and_or_b32 v209, v209, 15, 0x4b000000
	v_and_or_b32 v91, v91, 15, 0x4b000000
	;; [unrolled: 1-line block ×23, first 2 shown]
	v_dual_add_f32 v92, 0xcb000008, v92 :: v_dual_add_f32 v223, 0xcb000008, v223
	v_mov_b32_e32 v34, v101
	v_dual_add_f32 v98, 0xcb000008, v98 :: v_dual_add_f32 v179, 0xcb000008, v179
	v_dual_add_f32 v104, 0xcb000008, v104 :: v_dual_add_f32 v189, 0xcb000008, v189
	;; [unrolled: 1-line block ×27, first 2 shown]
	v_add_f32_e32 v214, 0xcb000008, v214
	v_dual_add_f32 v220, 0xcb000008, v220 :: v_dual_add_f32 v173, 0xcb000008, v173
	v_dual_add_f32 v178, 0xcb000008, v178 :: v_dual_add_f32 v193, 0xcb000008, v193
	;; [unrolled: 1-line block ×3, first 2 shown]
	v_add_f32_e32 v198, 0xcb000008, v198
	v_dual_add_f32 v208, 0xcb000008, v208 :: v_dual_add_f32 v225, 0xcb000008, v159
	v_and_or_b32 v159, v163, 15, 0x4b000000
	v_lshrrev_b32_e32 v163, 12, v163
	v_add_f32_e32 v169, 0xcb000008, v169
	v_dual_add_f32 v97, 0xcb000008, v97 :: v_dual_add_f32 v0, 0xcb000008, v0
	s_delay_alu instid0(VALU_DEP_4)
	v_add_f32_e32 v226, 0xcb000008, v159
	v_and_or_b32 v159, v229, 15, 0x4b000000
	v_and_or_b32 v229, v233, 15, 0x4b000000
	v_add_f32_e32 v233, 0xcb000008, v234
	v_and_or_b32 v234, v238, 15, 0x4b000000
	v_and_or_b32 v238, v242, 15, 0x4b000000
	;; [unrolled: 3-line block ×3, first 2 shown]
	v_add_f32_e32 v234, 0xcb000008, v234
	v_add_f32_e32 v238, 0xcb000008, v238
	v_dual_add_f32 v108, 0xcb000008, v108 :: v_dual_add_f32 v229, 0xcb000008, v229
	v_add_f32_e32 v243, 0xcb000008, v243
	v_add_f32_e32 v247, 0xcb000008, v247
	;; [unrolled: 1-line block ×6, first 2 shown]
	s_waitcnt vmcnt(0)
	v_dual_add_f32 v183, 0xcb000008, v183 :: v_dual_add_nc_u32 v130, v10, v12
	v_sub_nc_u32_e32 v10, v57, v36
	s_delay_alu instid0(VALU_DEP_1) | instskip(NEXT) | instid1(VALU_DEP_1)
	v_lshlrev_b32_e32 v10, 3, v10
	v_add_nc_u32_e32 v72, 0xffffff80, v10
	s_delay_alu instid0(VALU_DEP_1)
	v_add_nc_u32_e32 v9, v72, v9
	s_clause 0x1
	scratch_store_b32 off, v10, off offset:224
	scratch_store_b32 off, v9, off offset:116
	ds_load_b128 v[50:53], v82
	ds_load_b128 v[134:137], v83
	;; [unrolled: 1-line block ×13, first 2 shown]
	v_dual_add_f32 v111, 0xcb000008, v161 :: v_dual_add_f32 v112, 0xcb000008, v162
	v_and_or_b32 v161, v227, 15, 0x4b000000
	v_and_or_b32 v162, v163, 15, 0x4b000000
	v_add_f32_e32 v227, 0xcb000008, v165
	v_and_or_b32 v163, v230, 15, 0x4b000000
	v_and_or_b32 v165, v168, 15, 0x4b000000
	v_add_f32_e32 v168, 0xcb000008, v164
	v_and_or_b32 v164, v232, 15, 0x4b000000
	v_add_f32_e32 v230, 0xcb000008, v231
	v_and_or_b32 v231, v235, 15, 0x4b000000
	v_and_or_b32 v232, v236, 15, 0x4b000000
	v_and_or_b32 v235, v239, 15, 0x4b000000
	v_add_f32_e32 v236, 0xcb000008, v237
	v_and_or_b32 v237, v241, 15, 0x4b000000
	v_add_f32_e32 v239, 0xcb000008, v240
	v_and_or_b32 v240, v244, 15, 0x4b000000
	v_and_or_b32 v241, v245, 15, 0x4b000000
	v_and_or_b32 v244, v248, 15, 0x4b000000
	v_add_f32_e32 v245, 0xcb000008, v246
	v_and_or_b32 v246, v250, 15, 0x4b000000
	v_add_f32_e32 v248, 0xcb000008, v249
	v_and_or_b32 v249, v253, 15, 0x4b000000
	v_and_or_b32 v250, v254, 15, 0x4b000000
	v_add_f32_e32 v240, 0xcb000008, v240
	v_add_f32_e32 v244, 0xcb000008, v244
	s_delay_alu instid0(VALU_DEP_4) | instskip(NEXT) | instid1(VALU_DEP_4)
	v_dual_add_f32 v246, 0xcb000008, v246 :: v_dual_add_f32 v249, 0xcb000008, v249
	v_add_f32_e32 v250, 0xcb000008, v250
	v_dual_add_f32 v212, 0xcb000008, v212 :: v_dual_add_f32 v113, 0xcb000008, v162
	v_dual_add_f32 v218, 0xcb000008, v218 :: v_dual_add_f32 v115, 0xcb000008, v163
	;; [unrolled: 1-line block ×5, first 2 shown]
	v_add_f32_e32 v235, 0xcb000008, v235
	v_dual_add_f32 v114, 0xcb000008, v159 :: v_dual_add_f32 v237, 0xcb000008, v237
	v_add_f32_e32 v116, 0xcb000008, v165
	v_dual_add_f32 v232, 0xcb000008, v232 :: v_dual_add_f32 v241, 0xcb000008, v241
	; sched_barrier mask(0x00000000)
	s_waitcnt lgkmcnt(0)
	s_waitcnt_vscnt null, 0x0
	s_barrier
	; sched_barrier mask(0x00000000)
	v_perm_b32 v158, v0, v54, 0x7060302
	v_perm_b32 v159, v55, v56, 0x7060302
	;; [unrolled: 1-line block ×8, first 2 shown]
	s_delay_alu instid0(VALU_DEP_1)
	v_wmma_f32_16x16x16_bf16 v[1:8], v[38:45], v[158:165], v[1:8]
	v_perm_b32 v43, v106, v107, 0x7060302
	v_perm_b32 v42, v104, v105, 0x7060302
	;; [unrolled: 1-line block ×8, first 2 shown]
	s_delay_alu instid0(VALU_DEP_1)
	v_wmma_f32_16x16x16_bf16 v[1:8], v[46:53], v[38:45], v[1:8]
	; sched_barrier mask(0x00000000)
	s_setprio 1
	; sched_barrier mask(0x00000000)
	v_perm_b32 v38, v109, v110, 0x7060302
	v_perm_b32 v39, v121, v122, 0x7060302
	;; [unrolled: 1-line block ×16, first 2 shown]
	v_wmma_f32_16x16x16_bf16 v[1:8], v[134:141], v[38:45], v[1:8]
	v_perm_b32 v38, v169, v170, 0x7060302
	v_perm_b32 v39, v171, v172, 0x7060302
	;; [unrolled: 1-line block ×4, first 2 shown]
	v_wmma_f32_16x16x16_bf16 v[1:8], v[142:149], v[46:53], v[1:8]
	v_perm_b32 v42, v174, v175, 0x7060302
	v_perm_b32 v43, v176, v177, 0x7060302
	v_perm_b32 v44, v233, v231, 0x7060302
	v_perm_b32 v45, v232, v178, 0x7060302
	v_perm_b32 v51, v186, v187, 0x7060302
	v_perm_b32 v50, v184, v185, 0x7060302
	v_perm_b32 v47, v181, v182, 0x7060302
	v_perm_b32 v46, v179, v180, 0x7060302
	v_perm_b32 v52, v239, v237, 0x7060302
	v_perm_b32 v49, v235, v183, 0x7060302
	v_perm_b32 v48, v236, v234, 0x7060302
	v_perm_b32 v53, v238, v188, 0x7060302
	v_wmma_f32_16x16x16_bf16 v[1:8], v[150:157], v[38:45], v[1:8]
	v_perm_b32 v43, v206, v207, 0x7060302
	v_perm_b32 v42, v204, v205, 0x7060302
	;; [unrolled: 1-line block ×4, first 2 shown]
	v_wmma_f32_16x16x16_bf16 v[1:8], v[25:32], v[46:53], v[1:8]
	v_perm_b32 v45, v250, v208, 0x7060302
	v_perm_b32 v25, v189, v190, 0x7060302
	v_perm_b32 v26, v191, v192, 0x7060302
	v_perm_b32 v27, v242, v240, 0x7060302
	v_perm_b32 v28, v241, v193, 0x7060302
	v_perm_b32 v29, v194, v195, 0x7060302
	v_perm_b32 v30, v196, v197, 0x7060302
	v_perm_b32 v31, v245, v243, 0x7060302
	v_perm_b32 v32, v244, v198, 0x7060302
	v_perm_b32 v39, v201, v202, 0x7060302
	v_perm_b32 v38, v199, v200, 0x7060302
	v_perm_b32 v40, v248, v246, 0x7060302
	; sched_barrier mask(0x00000000)
	s_waitcnt lgkmcnt(0)
	s_barrier
	; sched_barrier mask(0x00000000)
	v_wmma_f32_16x16x16_bf16 v[1:8], v[17:24], v[25:32], v[1:8]
	s_delay_alu instid0(VALU_DEP_1) | instskip(SKIP_4) | instid1(VALU_DEP_2)
	v_wmma_f32_16x16x16_bf16 v[1:8], v[9:16], v[38:45], v[1:8]
	; sched_barrier mask(0x00000000)
	s_setprio 0
	; sched_barrier mask(0x00000000)
	scratch_load_b128 v[9:12], off, off offset:100 ; 16-byte Folded Reload
	v_lshlrev_b32_e32 v89, 1, v72
	v_add_nc_u32_e64 v134, 5, s24
	v_add_nc_u32_e32 v0, v37, v89
	s_waitcnt vmcnt(0)
	ds_store_b128 v0, v[9:12]
	v_sub_nc_u32_e32 v9, v36, v57
	s_delay_alu instid0(VALU_DEP_1)
	v_lshlrev_b32_e32 v9, 3, v9
	s_clause 0x1
	scratch_store_b32 off, v57, off
	scratch_store_b32 off, v9, off offset:100
	v_add_nc_u32_e32 v81, 0x80, v9
	scratch_load_b128 v[9:12], off, off offset:84 ; 16-byte Folded Reload
	v_lshlrev_b32_e32 v57, 1, v81
	s_delay_alu instid0(VALU_DEP_1) | instskip(SKIP_3) | instid1(VALU_DEP_1)
	v_add_nc_u32_e32 v59, v0, v57
	v_lshrrev_b32_e32 v0, 31, v130
	ds_store_b128 v59, v[85:88]
	v_add_nc_u32_e32 v0, v130, v0
	v_ashrrev_i32_e32 v60, 1, v0
	v_add_nc_u32_e32 v0, 0x80, v33
	s_waitcnt vmcnt(0)
	ds_store_b128 v60, v[9:12] offset:4096
	scratch_load_b128 v[11:14], off, off offset:68 ; 16-byte Folded Reload
	v_lshrrev_b32_e32 v9, 31, v33
	v_lshrrev_b32_e32 v10, 31, v0
	s_delay_alu instid0(VALU_DEP_2) | instskip(NEXT) | instid1(VALU_DEP_2)
	v_add_nc_u32_e32 v9, v33, v9
	v_add_nc_u32_e32 v0, v0, v10
	;; [unrolled: 1-line block ×3, first 2 shown]
	s_delay_alu instid0(VALU_DEP_3) | instskip(NEXT) | instid1(VALU_DEP_3)
	v_ashrrev_i32_e32 v9, 1, v9
	v_ashrrev_i32_e32 v0, 1, v0
	s_waitcnt vmcnt(0)
	ds_store_b128 v61, v[11:14] offset:4096
	s_clause 0x1
	buffer_load_b128 v[45:48], v9, s[12:15], 0 offen
	buffer_load_b128 v[41:44], v0, s[12:15], 0 offen
	s_clause 0x1
	buffer_load_b128 v[49:52], v10, s[0:3], 0 offen
	buffer_load_b128 v[53:56], v90, s[0:3], 0 offen offset:1024
	s_waitcnt vmcnt(0) lgkmcnt(0)
	s_waitcnt_vscnt null, 0x0
	s_barrier
	ds_load_b128 v[9:12], v80 offset:4096
	ds_load_b128 v[135:138], v129
	s_waitcnt lgkmcnt(1)
	v_lshrrev_b32_e32 v0, 4, v9
	v_lshrrev_b32_e32 v74, 8, v9
	v_lshrrev_b32_e32 v75, 12, v9
	v_and_or_b32 v76, v9, 15, 0x4b000000
	v_ashrrev_i32_e32 v77, 16, v9
	v_lshrrev_b32_e32 v78, 4, v10
	v_lshrrev_b32_e32 v79, 8, v10
	v_lshrrev_b32_e32 v80, 12, v10
	v_and_or_b32 v84, v10, 15, 0x4b000000
	v_ashrrev_i32_e32 v85, 16, v10
	;; [unrolled: 5-line block ×3, first 2 shown]
	v_lshrrev_b32_e32 v95, 4, v12
	v_and_or_b32 v96, v12, 15, 0x4b000000
	v_lshrrev_b32_e32 v97, 8, v12
	v_lshrrev_b32_e32 v98, 12, v12
	v_ashrrev_i32_e32 v99, 16, v12
	ds_load_b128 v[9:12], v35 offset:4096
	ds_load_b128 v[13:16], v63 offset:4096
	v_lshrrev_b32_e32 v205, 8, v77
	v_lshrrev_b32_e32 v206, 12, v77
	v_and_or_b32 v78, v78, 15, 0x4b000000
	v_lshrrev_b32_e32 v207, 4, v85
	v_lshrrev_b32_e32 v208, 8, v85
	;; [unrolled: 1-line block ×3, first 2 shown]
	v_and_or_b32 v85, v85, 15, 0x4b000000
	v_and_or_b32 v86, v86, 15, 0x4b000000
	;; [unrolled: 1-line block ×4, first 2 shown]
	v_lshrrev_b32_e32 v210, 4, v94
	v_lshrrev_b32_e32 v211, 8, v94
	;; [unrolled: 1-line block ×6, first 2 shown]
	v_and_or_b32 v0, v0, 15, 0x4b000000
	v_and_or_b32 v74, v74, 15, 0x4b000000
	s_waitcnt lgkmcnt(1)
	v_lshrrev_b32_e32 v100, 4, v9
	v_lshrrev_b32_e32 v101, 8, v9
	v_lshrrev_b32_e32 v102, 12, v9
	v_and_or_b32 v103, v9, 15, 0x4b000000
	v_ashrrev_i32_e32 v104, 16, v9
	v_lshrrev_b32_e32 v105, 4, v10
	v_lshrrev_b32_e32 v106, 8, v10
	v_lshrrev_b32_e32 v107, 12, v10
	v_and_or_b32 v108, v10, 15, 0x4b000000
	v_ashrrev_i32_e32 v109, 16, v10
	;; [unrolled: 5-line block ×4, first 2 shown]
	ds_load_b128 v[139:142], v73
	ds_load_b128 v[9:12], v62 offset:4096
	s_waitcnt lgkmcnt(2)
	v_lshrrev_b32_e32 v125, 8, v13
	v_and_or_b32 v168, v13, 15, 0x4b000000
	v_ashrrev_i32_e32 v169, 16, v13
	v_lshrrev_b32_e32 v124, 4, v13
	v_lshrrev_b32_e32 v167, 12, v13
	v_and_or_b32 v125, v125, 15, 0x4b000000
	v_add_f32_e32 v228, 0xcb000008, v168
	v_lshrrev_b32_e32 v168, 4, v169
	v_lshrrev_b32_e32 v170, 4, v14
	;; [unrolled: 1-line block ×3, first 2 shown]
	v_add_f32_e32 v125, 0xcb000008, v125
	v_lshrrev_b32_e32 v171, 8, v14
	v_and_or_b32 v168, v168, 15, 0x4b000000
	v_and_or_b32 v173, v14, 15, 0x4b000000
	v_ashrrev_i32_e32 v174, 16, v14
	v_and_or_b32 v124, v124, 15, 0x4b000000
	v_and_or_b32 v167, v167, 15, 0x4b000000
	v_lshrrev_b32_e32 v230, 12, v169
	v_and_or_b32 v169, v169, 15, 0x4b000000
	s_waitcnt lgkmcnt(0)
	v_lshrrev_b32_e32 v185, 4, v9
	v_lshrrev_b32_e32 v186, 8, v9
	;; [unrolled: 1-line block ×3, first 2 shown]
	v_and_or_b32 v188, v9, 15, 0x4b000000
	v_ashrrev_i32_e32 v189, 16, v9
	v_sub_nc_u32_e32 v9, v134, v58
	v_and_or_b32 v229, v229, 15, 0x4b000000
	v_add_f32_e32 v232, 0xcb000008, v168
	v_and_or_b32 v168, v170, 15, 0x4b000000
	v_lshrrev_b32_e32 v172, 12, v14
	v_mad_u64_u32 v[91:92], null, v9, s8, v[33:34]
	v_add_f32_e32 v229, 0xcb000008, v229
	scratch_load_b32 v9, off, off offset:116 ; 4-byte Folded Reload
	v_dual_add_f32 v124, 0xcb000008, v124 :: v_dual_add_f32 v231, 0xcb000008, v167
	v_and_or_b32 v167, v230, 15, 0x4b000000
	v_add_f32_e32 v230, 0xcb000008, v169
	v_and_or_b32 v169, v171, 15, 0x4b000000
	v_dual_add_f32 v234, 0xcb000008, v173 :: v_dual_add_f32 v235, 0xcb000008, v168
	v_lshrrev_b32_e32 v168, 4, v174
	v_lshrrev_b32_e32 v175, 4, v15
	v_add_f32_e32 v233, 0xcb000008, v167
	v_and_or_b32 v167, v172, 15, 0x4b000000
	v_add_f32_e32 v236, 0xcb000008, v169
	v_lshrrev_b32_e32 v169, 8, v174
	v_lshrrev_b32_e32 v170, 12, v174
	v_and_or_b32 v171, v174, 15, 0x4b000000
	v_add_f32_e32 v237, 0xcb000008, v167
	v_and_or_b32 v168, v168, 15, 0x4b000000
	v_lshrrev_b32_e32 v176, 8, v15
	v_lshrrev_b32_e32 v177, 12, v15
	v_and_or_b32 v178, v15, 15, 0x4b000000
	v_ashrrev_i32_e32 v179, 16, v15
	v_and_or_b32 v169, v169, 15, 0x4b000000
	v_and_or_b32 v167, v170, 15, 0x4b000000
	v_dual_add_f32 v238, 0xcb000008, v171 :: v_dual_add_f32 v239, 0xcb000008, v168
	v_and_or_b32 v168, v175, 15, 0x4b000000
	s_delay_alu instid0(VALU_DEP_3) | instskip(SKIP_2) | instid1(VALU_DEP_4)
	v_dual_add_f32 v240, 0xcb000008, v169 :: v_dual_add_f32 v175, 0xcb000008, v167
	v_and_or_b32 v169, v176, 15, 0x4b000000
	v_and_or_b32 v167, v177, 15, 0x4b000000
	v_dual_add_f32 v176, 0xcb000008, v178 :: v_dual_add_f32 v177, 0xcb000008, v168
	v_lshrrev_b32_e32 v168, 4, v179
	v_lshrrev_b32_e32 v180, 4, v16
	;; [unrolled: 1-line block ×3, first 2 shown]
	v_add_f32_e32 v178, 0xcb000008, v169
	v_lshrrev_b32_e32 v169, 8, v179
	v_and_or_b32 v171, v179, 15, 0x4b000000
	v_and_or_b32 v168, v168, 15, 0x4b000000
	v_lshrrev_b32_e32 v182, 12, v16
	v_and_or_b32 v183, v16, 15, 0x4b000000
	v_ashrrev_i32_e32 v184, 16, v16
	v_lshrrev_b32_e32 v170, 12, v179
	v_add_f32_e32 v179, 0xcb000008, v167
	v_and_or_b32 v169, v169, 15, 0x4b000000
	v_dual_add_f32 v241, 0xcb000008, v171 :: v_dual_add_f32 v242, 0xcb000008, v168
	v_and_or_b32 v167, v180, 15, 0x4b000000
	v_and_or_b32 v168, v181, 15, 0x4b000000
	;; [unrolled: 1-line block ×3, first 2 shown]
	v_add_f32_e32 v243, 0xcb000008, v169
	v_and_or_b32 v169, v182, 15, 0x4b000000
	v_add_f32_e32 v181, 0xcb000008, v183
	v_dual_add_f32 v182, 0xcb000008, v167 :: v_dual_add_f32 v183, 0xcb000008, v168
	v_lshrrev_b32_e32 v167, 4, v184
	v_lshrrev_b32_e32 v168, 8, v184
	v_add_f32_e32 v180, 0xcb000008, v170
	v_lshrrev_b32_e32 v170, 12, v184
	v_and_or_b32 v171, v184, 15, 0x4b000000
	v_and_or_b32 v167, v167, 15, 0x4b000000
	;; [unrolled: 1-line block ×3, first 2 shown]
	v_add_f32_e32 v184, 0xcb000008, v169
	v_and_or_b32 v169, v170, 15, 0x4b000000
	v_add_f32_e32 v244, 0xcb000008, v171
	s_delay_alu instid0(VALU_DEP_4) | instskip(SKIP_4) | instid1(VALU_DEP_4)
	v_dual_add_f32 v245, 0xcb000008, v167 :: v_dual_add_f32 v246, 0xcb000008, v168
	v_and_or_b32 v167, v185, 15, 0x4b000000
	v_and_or_b32 v168, v186, 15, 0x4b000000
	v_add_f32_e32 v185, 0xcb000008, v169
	v_and_or_b32 v169, v187, 15, 0x4b000000
	v_dual_add_f32 v186, 0xcb000008, v188 :: v_dual_add_f32 v187, 0xcb000008, v167
	s_delay_alu instid0(VALU_DEP_4)
	v_add_f32_e32 v188, 0xcb000008, v168
	v_lshrrev_b32_e32 v167, 4, v189
	v_lshrrev_b32_e32 v168, 8, v189
	;; [unrolled: 1-line block ×5, first 2 shown]
	v_and_or_b32 v167, v167, 15, 0x4b000000
	v_and_or_b32 v168, v168, 15, 0x4b000000
	v_lshrrev_b32_e32 v192, 12, v10
	v_and_or_b32 v193, v10, 15, 0x4b000000
	v_ashrrev_i32_e32 v194, 16, v10
	v_and_or_b32 v171, v189, 15, 0x4b000000
	v_add_f32_e32 v189, 0xcb000008, v169
	v_and_or_b32 v169, v170, 15, 0x4b000000
	v_dual_add_f32 v248, 0xcb000008, v167 :: v_dual_add_f32 v249, 0xcb000008, v168
	v_and_or_b32 v167, v190, 15, 0x4b000000
	v_and_or_b32 v168, v191, 15, 0x4b000000
	s_delay_alu instid0(VALU_DEP_4) | instskip(SKIP_1) | instid1(VALU_DEP_4)
	v_dual_add_f32 v247, 0xcb000008, v171 :: v_dual_add_f32 v190, 0xcb000008, v169
	v_and_or_b32 v169, v192, 15, 0x4b000000
	v_dual_add_f32 v191, 0xcb000008, v193 :: v_dual_add_f32 v192, 0xcb000008, v167
	s_delay_alu instid0(VALU_DEP_4)
	v_add_f32_e32 v193, 0xcb000008, v168
	v_lshrrev_b32_e32 v167, 4, v194
	v_lshrrev_b32_e32 v168, 8, v194
	;; [unrolled: 1-line block ×5, first 2 shown]
	v_and_or_b32 v167, v167, 15, 0x4b000000
	v_and_or_b32 v168, v168, 15, 0x4b000000
	v_lshrrev_b32_e32 v197, 12, v11
	v_and_or_b32 v198, v11, 15, 0x4b000000
	v_ashrrev_i32_e32 v199, 16, v11
	ds_load_b128 v[143:146], v34
	ds_load_b128 v[147:150], v82
	;; [unrolled: 1-line block ×12, first 2 shown]
	v_and_or_b32 v171, v194, 15, 0x4b000000
	v_add_f32_e32 v194, 0xcb000008, v169
	v_and_or_b32 v169, v170, 15, 0x4b000000
	v_dual_add_f32 v251, 0xcb000008, v167 :: v_dual_add_f32 v252, 0xcb000008, v168
	v_and_or_b32 v167, v195, 15, 0x4b000000
	v_and_or_b32 v168, v196, 15, 0x4b000000
	s_delay_alu instid0(VALU_DEP_4) | instskip(SKIP_1) | instid1(VALU_DEP_4)
	v_dual_add_f32 v250, 0xcb000008, v171 :: v_dual_add_f32 v195, 0xcb000008, v169
	v_and_or_b32 v169, v197, 15, 0x4b000000
	v_dual_add_f32 v196, 0xcb000008, v198 :: v_dual_add_f32 v197, 0xcb000008, v167
	s_delay_alu instid0(VALU_DEP_4)
	v_add_f32_e32 v198, 0xcb000008, v168
	v_lshrrev_b32_e32 v167, 4, v199
	v_lshrrev_b32_e32 v168, 8, v199
	;; [unrolled: 1-line block ×5, first 2 shown]
	v_and_or_b32 v203, v12, 15, 0x4b000000
	v_ashrrev_i32_e32 v204, 16, v12
	v_lshrrev_b32_e32 v170, 12, v199
	v_and_or_b32 v167, v167, 15, 0x4b000000
	v_and_or_b32 v168, v168, 15, 0x4b000000
	v_lshrrev_b32_e32 v92, 4, v77
	v_and_or_b32 v171, v199, 15, 0x4b000000
	v_add_f32_e32 v199, 0xcb000008, v169
	v_and_or_b32 v169, v170, 15, 0x4b000000
	v_dual_add_f32 v254, 0xcb000008, v167 :: v_dual_add_f32 v255, 0xcb000008, v168
	v_and_or_b32 v167, v200, 15, 0x4b000000
	v_and_or_b32 v168, v201, 15, 0x4b000000
	;; [unrolled: 1-line block ×3, first 2 shown]
	v_lshrrev_b32_e32 v216, 4, v104
	v_lshrrev_b32_e32 v217, 8, v104
	;; [unrolled: 1-line block ×12, first 2 shown]
	v_dual_add_f32 v253, 0xcb000008, v171 :: v_dual_add_f32 v200, 0xcb000008, v169
	v_and_or_b32 v169, v202, 15, 0x4b000000
	v_add_f32_e32 v201, 0xcb000008, v203
	v_dual_add_f32 v202, 0xcb000008, v167 :: v_dual_add_f32 v203, 0xcb000008, v168
	v_lshrrev_b32_e32 v167, 4, v204
	v_lshrrev_b32_e32 v168, 8, v204
	;; [unrolled: 1-line block ×3, first 2 shown]
	v_and_or_b32 v75, v75, 15, 0x4b000000
	v_and_or_b32 v77, v77, 15, 0x4b000000
	;; [unrolled: 1-line block ×4, first 2 shown]
	v_add_f32_e32 v92, 0xcb000008, v92
	v_and_or_b32 v79, v79, 15, 0x4b000000
	v_and_or_b32 v80, v80, 15, 0x4b000000
	v_add_f32_e32 v84, 0xcb000008, v84
	v_dual_add_f32 v78, 0xcb000008, v78 :: v_dual_add_f32 v85, 0xcb000008, v85
	v_and_or_b32 v207, v207, 15, 0x4b000000
	v_and_or_b32 v208, v208, 15, 0x4b000000
	;; [unrolled: 1-line block ×3, first 2 shown]
	v_dual_add_f32 v93, 0xcb000008, v93 :: v_dual_add_f32 v86, 0xcb000008, v86
	v_dual_add_f32 v87, 0xcb000008, v87 :: v_dual_add_f32 v88, 0xcb000008, v88
	v_and_or_b32 v94, v94, 15, 0x4b000000
	v_and_or_b32 v210, v210, 15, 0x4b000000
	;; [unrolled: 1-line block ×43, first 2 shown]
	v_add_f32_e32 v76, 0xcb000008, v76
	v_add_f32_e32 v0, 0xcb000008, v0
	v_dual_add_f32 v74, 0xcb000008, v74 :: v_dual_add_f32 v75, 0xcb000008, v75
	v_add_f32_e32 v77, 0xcb000008, v77
	v_dual_add_f32 v205, 0xcb000008, v205 :: v_dual_add_f32 v206, 0xcb000008, v206
	v_dual_add_f32 v79, 0xcb000008, v79 :: v_dual_add_f32 v80, 0xcb000008, v80
	;; [unrolled: 1-line block ×9, first 2 shown]
	v_add_f32_e32 v215, 0xcb000008, v215
	v_dual_add_f32 v103, 0xcb000008, v103 :: v_dual_add_f32 v100, 0xcb000008, v100
	v_dual_add_f32 v101, 0xcb000008, v101 :: v_dual_add_f32 v102, 0xcb000008, v102
	;; [unrolled: 1-line block ×16, first 2 shown]
	v_add_f32_e32 v204, 0xcb000008, v169
	v_add_f32_e32 v128, 0xcb000008, v168
	;; [unrolled: 1-line block ×3, first 2 shown]
	s_waitcnt vmcnt(0)
	v_add3_u32 v73, v9, v81, v72
	ds_load_b128 v[9:12], v117
	ds_load_b128 v[13:16], v119
	v_add_f32_e32 v119, 0xcb000008, v171
	v_add_f32_e32 v117, 0xcb000008, v167
	; sched_barrier mask(0x00000000)
	s_waitcnt lgkmcnt(0)
	s_barrier
	; sched_barrier mask(0x00000000)
	v_perm_b32 v167, v76, v0, 0x7060302
	v_perm_b32 v168, v74, v75, 0x7060302
	;; [unrolled: 1-line block ×8, first 2 shown]
	s_delay_alu instid0(VALU_DEP_1)
	v_wmma_f32_16x16x16_bf16 v[1:8], v[135:142], v[167:174], v[1:8]
	v_perm_b32 v140, v97, v98, 0x7060302
	v_perm_b32 v139, v96, v95, 0x7060302
	;; [unrolled: 1-line block ×8, first 2 shown]
	s_delay_alu instid0(VALU_DEP_1)
	v_wmma_f32_16x16x16_bf16 v[1:8], v[143:150], v[135:142], v[1:8]
	; sched_barrier mask(0x00000000)
	s_setprio 1
	; sched_barrier mask(0x00000000)
	v_perm_b32 v135, v103, v100, 0x7060302
	v_perm_b32 v136, v101, v102, 0x7060302
	;; [unrolled: 1-line block ×16, first 2 shown]
	v_wmma_f32_16x16x16_bf16 v[1:8], v[151:158], v[135:142], v[1:8]
	v_perm_b32 v135, v228, v124, 0x7060302
	v_perm_b32 v136, v125, v231, 0x7060302
	;; [unrolled: 1-line block ×4, first 2 shown]
	v_wmma_f32_16x16x16_bf16 v[1:8], v[159:166], v[143:150], v[1:8]
	v_perm_b32 v139, v234, v235, 0x7060302
	v_perm_b32 v140, v236, v237, 0x7060302
	;; [unrolled: 1-line block ×12, first 2 shown]
	v_wmma_f32_16x16x16_bf16 v[1:8], v[33:40], v[135:142], v[1:8]
	v_perm_b32 v38, v203, v204, 0x7060302
	v_perm_b32 v37, v201, v202, 0x7060302
	v_perm_b32 v34, v198, v199, 0x7060302
	v_perm_b32 v33, v196, v197, 0x7060302
	v_wmma_f32_16x16x16_bf16 v[1:8], v[25:32], v[143:150], v[1:8]
	v_perm_b32 v25, v186, v187, 0x7060302
	v_perm_b32 v26, v188, v189, 0x7060302
	;; [unrolled: 1-line block ×12, first 2 shown]
	; sched_barrier mask(0x00000000)
	s_waitcnt lgkmcnt(0)
	s_barrier
	; sched_barrier mask(0x00000000)
	v_wmma_f32_16x16x16_bf16 v[1:8], v[17:24], v[25:32], v[1:8]
	s_delay_alu instid0(VALU_DEP_1)
	v_wmma_f32_16x16x16_bf16 v[1:8], v[9:16], v[33:40], v[1:8]
	; sched_barrier mask(0x00000000)
	s_setprio 0
	; sched_barrier mask(0x00000000)
	scratch_load_b128 v[9:12], off, off offset:52 ; 16-byte Folded Reload
	v_add_nc_u32_e32 v0, v59, v89
	v_add_nc_u32_e32 v70, 12, v70
	;; [unrolled: 1-line block ×4, first 2 shown]
	s_delay_alu instid0(VALU_DEP_4)
	v_add_nc_u32_e32 v69, v0, v57
	v_add3_u32 v57, v73, v81, v72
	v_lshrrev_b32_e32 v92, 2, v70
	s_waitcnt vmcnt(0)
	ds_store_b128 v0, v[9:12]
	scratch_load_b128 v[9:12], off, off offset:4 ; 16-byte Folded Reload
	v_lshrrev_b32_e32 v0, 31, v91
	s_delay_alu instid0(VALU_DEP_1) | instskip(NEXT) | instid1(VALU_DEP_1)
	v_add_nc_u32_e32 v0, v91, v0
	v_ashrrev_i32_e32 v0, 1, v0
	s_waitcnt vmcnt(0)
	ds_store_b128 v69, v[9:12]
	scratch_load_b128 v[9:12], off, off offset:20 ; 16-byte Folded Reload
	s_waitcnt vmcnt(0)
	ds_store_b128 v60, v[9:12] offset:4096
	scratch_load_b128 v[9:12], off, off offset:36 ; 16-byte Folded Reload
	s_waitcnt vmcnt(0)
	ds_store_b128 v61, v[9:12] offset:4096
	s_clause 0x1
	buffer_load_b128 v[243:246], v90, s[0:3], 0 offen offset:1280
	buffer_load_b128 v[81:84], v64, s[0:3], 0 offen
	buffer_load_b128 v[247:250], v0, s[12:15], 0 offen
	v_add_nc_u32_e32 v0, 0x80, v91
	s_delay_alu instid0(VALU_DEP_1) | instskip(NEXT) | instid1(VALU_DEP_1)
	v_lshrrev_b32_e32 v9, 31, v0
	v_add_nc_u32_e32 v0, v0, v9
	s_delay_alu instid0(VALU_DEP_1) | instskip(SKIP_3) | instid1(SALU_CYCLE_1)
	v_ashrrev_i32_e32 v0, 1, v0
	buffer_load_b128 v[85:88], v0, s[12:15], 0 offen
	v_add_nc_u32_e64 v0, 6, s24
	s_add_i32 s24, s24, 3
	s_cmp_lt_i32 s24, s7
	s_delay_alu instid0(VALU_DEP_1) | instskip(NEXT) | instid1(VALU_DEP_1)
	v_sub_nc_u32_e32 v0, v0, v134
	v_mad_u64_u32 v[89:90], null, v0, s8, v[91:92]
	scratch_load_b32 v0, off, off offset:212 ; 4-byte Folded Reload
	s_waitcnt vmcnt(0)
	v_add_nc_u32_e32 v120, v120, v0
	s_cbranch_scc1 .LBB9_12
; %bb.13:
	s_waitcnt lgkmcnt(0)
	s_barrier
	s_clause 0x7
	scratch_load_b32 v0, off, off offset:140
	scratch_load_b32 v73, off, off offset:160
	;; [unrolled: 1-line block ×8, first 2 shown]
	s_lshl_b64 s[0:1], s[22:23], 1
	s_mul_i32 s17, s17, s9
	s_mul_hi_u32 s2, s16, s9
	s_add_u32 s12, s20, s0
	s_addc_u32 s13, s21, s1
	s_add_i32 s2, s2, s17
	s_clause 0x7
	scratch_load_b32 v252, off, off offset:152
	scratch_load_b32 v79, off, off offset:168
	;; [unrolled: 1-line block ×8, first 2 shown]
	s_waitcnt vmcnt(15)
	ds_load_b128 v[9:12], v0 offset:4096
	s_waitcnt vmcnt(14)
	ds_load_b128 v[217:220], v73
	s_waitcnt vmcnt(13)
	ds_load_b128 v[37:40], v251
	;; [unrolled: 2-line block ×9, first 2 shown]
	s_waitcnt lgkmcnt(9)
	v_lshrrev_b32_e32 v0, 4, v9
	v_lshrrev_b32_e32 v65, 8, v9
	;; [unrolled: 1-line block ×3, first 2 shown]
	v_and_or_b32 v131, v9, 15, 0x4b000000
	v_ashrrev_i32_e32 v68, 16, v9
	scratch_load_b32 v9, off, off offset:132 ; 4-byte Folded Reload
	v_lshrrev_b32_e32 v70, 4, v10
	v_lshrrev_b32_e32 v71, 8, v10
	;; [unrolled: 1-line block ×3, first 2 shown]
	v_and_or_b32 v89, v10, 15, 0x4b000000
	v_ashrrev_i32_e32 v90, 16, v10
	v_lshrrev_b32_e32 v91, 4, v11
	v_lshrrev_b32_e32 v92, 8, v11
	;; [unrolled: 1-line block ×3, first 2 shown]
	v_and_or_b32 v94, v11, 15, 0x4b000000
	v_ashrrev_i32_e32 v95, 16, v11
	v_lshrrev_b32_e32 v96, 4, v12
	v_and_or_b32 v97, v12, 15, 0x4b000000
	v_lshrrev_b32_e32 v98, 8, v12
	v_lshrrev_b32_e32 v99, 12, v12
	v_ashrrev_i32_e32 v100, 16, v12
	v_and_or_b32 v65, v65, 15, 0x4b000000
	v_mov_b32_e32 v242, v61
	v_and_or_b32 v91, v91, 15, 0x4b000000
	v_dual_add_f32 v94, 0xcb000008, v94 :: v_dual_add_f32 v97, 0xcb000008, v97
	v_lshrrev_b32_e32 v197, 12, v100
	scratch_store_b32 off, v60, off         ; 4-byte Folded Spill
	v_dual_add_f32 v74, 0xcb000008, v131 :: v_dual_add_f32 v89, 0xcb000008, v89
	scratch_store_b32 off, v94, off offset:4 ; 4-byte Folded Spill
	v_and_or_b32 v197, v197, 15, 0x4b000000
	v_add_f32_e32 v94, 0xcb000008, v91
	s_waitcnt vmcnt(2)
	ds_load_b128 v[33:36], v80
	s_waitcnt vmcnt(1)
	ds_load_b128 v[17:20], v75
	v_lshrrev_b32_e32 v186, 4, v68
	v_add_f32_e32 v197, 0xcb000008, v197
	v_lshrrev_b32_e32 v187, 8, v68
	v_lshrrev_b32_e32 v188, 12, v68
	;; [unrolled: 1-line block ×10, first 2 shown]
	v_and_or_b32 v0, v0, 15, 0x4b000000
	v_and_or_b32 v66, v66, 15, 0x4b000000
	;; [unrolled: 1-line block ×25, first 2 shown]
	v_dual_add_f32 v0, 0xcb000008, v0 :: v_dual_add_f32 v187, 0xcb000008, v187
	v_dual_add_f32 v65, 0xcb000008, v65 :: v_dual_add_f32 v66, 0xcb000008, v66
	;; [unrolled: 1-line block ×10, first 2 shown]
	v_add_f32_e32 v195, 0xcb000008, v195
	s_waitcnt vmcnt(0)
	ds_load_b128 v[9:12], v9 offset:4096
	s_waitcnt lgkmcnt(0)
	v_lshrrev_b32_e32 v101, 4, v9
	v_lshrrev_b32_e32 v102, 8, v9
	v_lshrrev_b32_e32 v103, 12, v9
	v_and_or_b32 v104, v9, 15, 0x4b000000
	v_ashrrev_i32_e32 v105, 16, v9
	scratch_load_b32 v9, off, off offset:120 ; 4-byte Folded Reload
	ds_load_b128 v[13:16], v13 offset:4096
	v_lshrrev_b32_e32 v106, 4, v10
	v_lshrrev_b32_e32 v107, 8, v10
	v_lshrrev_b32_e32 v108, 12, v10
	v_and_or_b32 v109, v10, 15, 0x4b000000
	v_ashrrev_i32_e32 v110, 16, v10
	v_lshrrev_b32_e32 v111, 4, v11
	v_lshrrev_b32_e32 v112, 8, v11
	v_lshrrev_b32_e32 v113, 12, v11
	v_and_or_b32 v114, v11, 15, 0x4b000000
	v_ashrrev_i32_e32 v115, 16, v11
	v_lshrrev_b32_e32 v116, 4, v12
	v_lshrrev_b32_e32 v117, 8, v12
	v_lshrrev_b32_e32 v118, 12, v12
	v_and_or_b32 v119, v12, 15, 0x4b000000
	v_ashrrev_i32_e32 v128, 16, v12
	v_lshrrev_b32_e32 v206, 12, v115
	v_lshrrev_b32_e32 v198, 4, v105
	;; [unrolled: 1-line block ×5, first 2 shown]
	v_and_or_b32 v206, v206, 15, 0x4b000000
	v_lshrrev_b32_e32 v208, 8, v128
	v_lshrrev_b32_e32 v209, 12, v128
	v_and_or_b32 v128, v128, 15, 0x4b000000
	v_lshrrev_b32_e32 v201, 4, v110
	v_lshrrev_b32_e32 v202, 8, v110
	;; [unrolled: 1-line block ×5, first 2 shown]
	v_and_or_b32 v101, v101, 15, 0x4b000000
	v_and_or_b32 v102, v102, 15, 0x4b000000
	;; [unrolled: 1-line block ×26, first 2 shown]
	v_dual_add_f32 v194, 0xcb000008, v194 :: v_dual_add_f32 v101, 0xcb000008, v101
	v_dual_add_f32 v96, 0xcb000008, v96 :: v_dual_add_f32 v103, 0xcb000008, v103
	v_dual_add_f32 v98, 0xcb000008, v98 :: v_dual_add_f32 v105, 0xcb000008, v105
	v_dual_add_f32 v100, 0xcb000008, v100 :: v_dual_add_f32 v199, 0xcb000008, v199
	v_dual_add_f32 v196, 0xcb000008, v196 :: v_dual_add_f32 v109, 0xcb000008, v109
	v_dual_add_f32 v104, 0xcb000008, v104 :: v_dual_add_f32 v107, 0xcb000008, v107
	v_dual_add_f32 v102, 0xcb000008, v102 :: v_dual_add_f32 v201, 0xcb000008, v201
	v_dual_add_f32 v198, 0xcb000008, v198 :: v_dual_add_f32 v203, 0xcb000008, v203
	v_dual_add_f32 v200, 0xcb000008, v200 :: v_dual_add_f32 v111, 0xcb000008, v111
	v_dual_add_f32 v106, 0xcb000008, v106 :: v_dual_add_f32 v113, 0xcb000008, v113
	v_dual_add_f32 v108, 0xcb000008, v108 :: v_dual_add_f32 v115, 0xcb000008, v115
	v_dual_add_f32 v110, 0xcb000008, v110 :: v_dual_add_f32 v205, 0xcb000008, v205
	v_dual_add_f32 v202, 0xcb000008, v202 :: v_dual_add_f32 v119, 0xcb000008, v119
	v_dual_add_f32 v114, 0xcb000008, v114 :: v_dual_add_f32 v117, 0xcb000008, v117
	v_dual_add_f32 v112, 0xcb000008, v112 :: v_dual_add_f32 v207, 0xcb000008, v207
	v_dual_add_f32 v204, 0xcb000008, v204 :: v_dual_add_f32 v209, 0xcb000008, v209
	s_waitcnt vmcnt(0)
	ds_load_b128 v[61:64], v9
	scratch_load_b32 v9, off, off offset:124 ; 4-byte Folded Reload
	s_waitcnt lgkmcnt(1)
	v_and_or_b32 v149, v13, 15, 0x4b000000
	v_ashrrev_i32_e32 v150, 16, v13
	v_lshrrev_b32_e32 v132, 12, v13
	v_lshrrev_b32_e32 v152, 8, v14
	s_delay_alu instid0(VALU_DEP_4) | instskip(NEXT) | instid1(VALU_DEP_4)
	v_dual_add_f32 v206, 0xcb000008, v206 :: v_dual_add_f32 v91, 0xcb000008, v149
	v_lshrrev_b32_e32 v149, 4, v150
	v_lshrrev_b32_e32 v211, 8, v150
	;; [unrolled: 1-line block ×3, first 2 shown]
	v_and_or_b32 v150, v150, 15, 0x4b000000
	v_ashrrev_i32_e32 v155, 16, v14
	v_add_f32_e32 v128, 0xcb000008, v128
	v_and_or_b32 v132, v132, 15, 0x4b000000
	v_lshrrev_b32_e32 v157, 8, v15
	v_add_f32_e32 v131, 0xcb000008, v150
	v_and_or_b32 v150, v152, 15, 0x4b000000
	v_and_or_b32 v149, v149, 15, 0x4b000000
	v_add_f32_e32 v132, 0xcb000008, v132
	v_lshrrev_b32_e32 v151, 4, v14
	v_ashrrev_i32_e32 v160, 16, v15
	v_add_f32_e32 v137, 0xcb000008, v150
	v_lshrrev_b32_e32 v150, 8, v155
	v_lshrrev_b32_e32 v153, 12, v14
	v_lshrrev_b32_e32 v130, 8, v13
	v_lshrrev_b32_e32 v156, 4, v15
	v_lshrrev_b32_e32 v152, 12, v155
	v_and_or_b32 v150, v150, 15, 0x4b000000
	v_add_f32_e32 v134, 0xcb000008, v149
	v_and_or_b32 v149, v151, 15, 0x4b000000
	v_and_or_b32 v151, v153, 15, 0x4b000000
	v_lshrrev_b32_e32 v158, 12, v15
	v_add_f32_e32 v221, 0xcb000008, v150
	v_and_or_b32 v150, v157, 15, 0x4b000000
	v_and_or_b32 v159, v15, 15, 0x4b000000
	;; [unrolled: 1-line block ×5, first 2 shown]
	v_add_f32_e32 v222, 0xcb000008, v150
	v_lshrrev_b32_e32 v150, 8, v160
	v_lshrrev_b32_e32 v162, 8, v16
	v_ashrrev_i32_e32 v165, 16, v16
	v_dual_add_f32 v130, 0xcb000008, v130 :: v_dual_add_f32 v139, 0xcb000008, v153
	s_delay_alu instid0(VALU_DEP_4)
	v_and_or_b32 v150, v150, 15, 0x4b000000
	v_add_f32_e32 v136, 0xcb000008, v149
	v_lshrrev_b32_e32 v149, 4, v155
	v_and_or_b32 v153, v160, 15, 0x4b000000
	v_lshrrev_b32_e32 v161, 4, v16
	v_add_f32_e32 v225, 0xcb000008, v150
	v_lshrrev_b32_e32 v163, 12, v16
	v_and_or_b32 v149, v149, 15, 0x4b000000
	v_and_or_b32 v164, v16, 15, 0x4b000000
	v_add_f32_e32 v223, 0xcb000008, v153
	v_and_or_b32 v150, v162, 15, 0x4b000000
	v_and_or_b32 v153, v165, 15, 0x4b000000
	v_add_f32_e32 v140, 0xcb000008, v149
	v_and_or_b32 v149, v156, 15, 0x4b000000
	v_add_f32_e32 v138, 0xcb000008, v151
	;; [unrolled: 2-line block ×3, first 2 shown]
	v_lshrrev_b32_e32 v152, 12, v160
	v_add_f32_e32 v226, 0xcb000008, v153
	ds_load_b128 v[57:60], v133
	v_add_f32_e32 v157, 0xcb000008, v151
	v_and_or_b32 v151, v158, 15, 0x4b000000
	v_dual_add_f32 v158, 0xcb000008, v159 :: v_dual_add_f32 v159, 0xcb000008, v149
	v_lshrrev_b32_e32 v149, 4, v160
	v_and_or_b32 v152, v152, 15, 0x4b000000
	s_delay_alu instid0(VALU_DEP_4)
	v_add_f32_e32 v160, 0xcb000008, v151
	v_and_or_b32 v151, v163, 15, 0x4b000000
	v_lshrrev_b32_e32 v129, 4, v13
	v_and_or_b32 v149, v149, 15, 0x4b000000
	v_and_or_b32 v154, v14, 15, 0x4b000000
	ds_load_b128 v[13:16], v253
	v_and_or_b32 v211, v211, 15, 0x4b000000
	v_and_or_b32 v129, v129, 15, 0x4b000000
	v_add_f32_e32 v224, 0xcb000008, v149
	v_and_or_b32 v149, v161, 15, 0x4b000000
	v_add_f32_e32 v161, 0xcb000008, v152
	v_lshrrev_b32_e32 v152, 12, v165
	v_dual_add_f32 v116, 0xcb000008, v116 :: v_dual_add_f32 v129, 0xcb000008, v129
	s_delay_alu instid0(VALU_DEP_4) | instskip(SKIP_3) | instid1(VALU_DEP_3)
	v_add_f32_e32 v163, 0xcb000008, v149
	v_lshrrev_b32_e32 v149, 4, v165
	v_dual_add_f32 v118, 0xcb000008, v118 :: v_dual_add_f32 v211, 0xcb000008, v211
	v_dual_add_f32 v208, 0xcb000008, v208 :: v_dual_add_f32 v135, 0xcb000008, v154
	v_and_or_b32 v149, v149, 15, 0x4b000000
	s_delay_alu instid0(VALU_DEP_1)
	v_add_f32_e32 v227, 0xcb000008, v149
	s_waitcnt vmcnt(0)
	ds_load_b128 v[9:12], v9 offset:4096
	s_waitcnt lgkmcnt(0)
	v_lshrrev_b32_e32 v166, 4, v9
	v_lshrrev_b32_e32 v167, 8, v9
	;; [unrolled: 1-line block ×3, first 2 shown]
	v_and_or_b32 v169, v9, 15, 0x4b000000
	v_ashrrev_i32_e32 v170, 16, v9
	scratch_load_b32 v9, off, off offset:136 ; 4-byte Folded Reload
	v_add_f32_e32 v162, 0xcb000008, v164
	v_and_or_b32 v149, v166, 15, 0x4b000000
	v_lshrrev_b32_e32 v171, 4, v10
	v_and_or_b32 v153, v170, 15, 0x4b000000
	v_add_f32_e32 v164, 0xcb000008, v150
	v_lshrrev_b32_e32 v150, 8, v165
	v_add_f32_e32 v165, 0xcb000008, v151
	v_and_or_b32 v151, v152, 15, 0x4b000000
	v_add_f32_e32 v229, 0xcb000008, v153
	v_lshrrev_b32_e32 v152, 12, v170
	v_and_or_b32 v150, v150, 15, 0x4b000000
	v_lshrrev_b32_e32 v172, 8, v10
	v_lshrrev_b32_e32 v173, 12, v10
	v_ashrrev_i32_e32 v175, 16, v10
	v_and_or_b32 v179, v11, 15, 0x4b000000
	v_add_f32_e32 v228, 0xcb000008, v150
	v_and_or_b32 v150, v167, 15, 0x4b000000
	v_add_f32_e32 v167, 0xcb000008, v169
	v_and_or_b32 v174, v10, 15, 0x4b000000
	v_ashrrev_i32_e32 v180, 16, v11
	v_and_or_b32 v153, v175, 15, 0x4b000000
	v_add_f32_e32 v169, 0xcb000008, v150
	v_lshrrev_b32_e32 v150, 8, v170
	v_lshrrev_b32_e32 v177, 8, v11
	;; [unrolled: 1-line block ×3, first 2 shown]
	v_add_f32_e32 v232, 0xcb000008, v153
	v_and_or_b32 v153, v180, 15, 0x4b000000
	v_and_or_b32 v150, v150, 15, 0x4b000000
	v_add_f32_e32 v166, 0xcb000008, v151
	v_and_or_b32 v151, v168, 15, 0x4b000000
	v_add_f32_e32 v168, 0xcb000008, v149
	v_lshrrev_b32_e32 v149, 4, v170
	v_add_f32_e32 v231, 0xcb000008, v150
	v_and_or_b32 v150, v172, 15, 0x4b000000
	v_lshrrev_b32_e32 v178, 12, v11
	v_lshrrev_b32_e32 v181, 4, v12
	v_and_or_b32 v149, v149, 15, 0x4b000000
	v_lshrrev_b32_e32 v182, 8, v12
	v_lshrrev_b32_e32 v183, 12, v12
	v_ashrrev_i32_e32 v185, 16, v12
	v_and_or_b32 v184, v12, 15, 0x4b000000
	v_add_f32_e32 v230, 0xcb000008, v149
	v_and_or_b32 v149, v171, 15, 0x4b000000
	v_add_f32_e32 v170, 0xcb000008, v151
	v_and_or_b32 v151, v152, 15, 0x4b000000
	v_lshrrev_b32_e32 v152, 12, v175
	v_add_f32_e32 v235, 0xcb000008, v153
	v_and_or_b32 v153, v185, 15, 0x4b000000
	s_delay_alu instid0(VALU_DEP_4) | instskip(SKIP_4) | instid1(VALU_DEP_2)
	v_add_f32_e32 v171, 0xcb000008, v151
	v_and_or_b32 v151, v173, 15, 0x4b000000
	v_add_f32_e32 v173, 0xcb000008, v149
	v_lshrrev_b32_e32 v149, 4, v175
	v_add_f32_e32 v238, 0xcb000008, v153
	v_and_or_b32 v149, v149, 15, 0x4b000000
	v_add_f32_e32 v172, 0xcb000008, v174
	v_add_f32_e32 v174, 0xcb000008, v150
	v_lshrrev_b32_e32 v150, 8, v175
	v_add_f32_e32 v175, 0xcb000008, v151
	v_and_or_b32 v151, v152, 15, 0x4b000000
	v_add_f32_e32 v233, 0xcb000008, v149
	v_and_or_b32 v149, v176, 15, 0x4b000000
	v_and_or_b32 v150, v150, 15, 0x4b000000
	v_lshrrev_b32_e32 v152, 12, v180
	s_delay_alu instid0(VALU_DEP_2) | instskip(SKIP_2) | instid1(VALU_DEP_2)
	v_add_f32_e32 v234, 0xcb000008, v150
	v_and_or_b32 v150, v177, 15, 0x4b000000
	v_add_f32_e32 v177, 0xcb000008, v179
	v_add_f32_e32 v179, 0xcb000008, v150
	v_lshrrev_b32_e32 v150, 8, v180
	s_delay_alu instid0(VALU_DEP_1)
	v_and_or_b32 v150, v150, 15, 0x4b000000
	v_add_f32_e32 v176, 0xcb000008, v151
	v_and_or_b32 v151, v178, 15, 0x4b000000
	v_add_f32_e32 v178, 0xcb000008, v149
	v_lshrrev_b32_e32 v149, 4, v180
	v_add_f32_e32 v237, 0xcb000008, v150
	v_and_or_b32 v150, v182, 15, 0x4b000000
	s_delay_alu instid0(VALU_DEP_3) | instskip(NEXT) | instid1(VALU_DEP_1)
	v_and_or_b32 v149, v149, 15, 0x4b000000
	v_add_f32_e32 v236, 0xcb000008, v149
	v_and_or_b32 v149, v181, 15, 0x4b000000
	v_add_f32_e32 v180, 0xcb000008, v151
	v_and_or_b32 v151, v152, 15, 0x4b000000
	v_lshrrev_b32_e32 v152, 12, v185
	s_delay_alu instid0(VALU_DEP_2) | instskip(SKIP_4) | instid1(VALU_DEP_2)
	v_add_f32_e32 v181, 0xcb000008, v151
	v_and_or_b32 v151, v183, 15, 0x4b000000
	v_add_f32_e32 v183, 0xcb000008, v149
	v_lshrrev_b32_e32 v149, 4, v185
	v_and_or_b32 v152, v152, 15, 0x4b000000
	v_and_or_b32 v149, v149, 15, 0x4b000000
	v_add_f32_e32 v182, 0xcb000008, v184
	v_add_f32_e32 v184, 0xcb000008, v150
	v_lshrrev_b32_e32 v150, 8, v185
	v_add_f32_e32 v185, 0xcb000008, v151
	v_add_f32_e32 v239, 0xcb000008, v149
	v_add_f32_e32 v241, 0xcb000008, v152
	s_delay_alu instid0(VALU_DEP_4) | instskip(NEXT) | instid1(VALU_DEP_1)
	v_and_or_b32 v150, v150, 15, 0x4b000000
	v_add_f32_e32 v240, 0xcb000008, v150
	s_waitcnt vmcnt(0)
	ds_load_b128 v[120:123], v9
	ds_load_b128 v[9:12], v77
	; sched_barrier mask(0x00000000)
	s_waitcnt lgkmcnt(0)
	s_waitcnt_vscnt null, 0x0
	s_barrier
	; sched_barrier mask(0x00000000)
	v_perm_b32 v149, v74, v0, 0x7060302
	scratch_load_b32 v0, off, off offset:4  ; 4-byte Folded Reload
	v_perm_b32 v150, v65, v66, 0x7060302
	v_perm_b32 v151, v68, v186, 0x7060302
	;; [unrolled: 1-line block ×7, first 2 shown]
	s_delay_alu instid0(VALU_DEP_1)
	v_wmma_f32_16x16x16_bf16 v[1:8], v[57:64], v[149:156], v[1:8]
	v_perm_b32 v62, v98, v99, 0x7060302
	v_perm_b32 v61, v97, v96, 0x7060302
	;; [unrolled: 1-line block ×7, first 2 shown]
	s_waitcnt vmcnt(0)
	v_perm_b32 v57, v0, v94, 0x7060302
	s_delay_alu instid0(VALU_DEP_1)
	v_wmma_f32_16x16x16_bf16 v[1:8], v[120:127], v[57:64], v[1:8]
	; sched_barrier mask(0x00000000)
	s_setprio 1
	; sched_barrier mask(0x00000000)
	v_perm_b32 v57, v104, v101, 0x7060302
	v_perm_b32 v58, v102, v103, 0x7060302
	;; [unrolled: 1-line block ×16, first 2 shown]
	v_wmma_f32_16x16x16_bf16 v[1:8], v[213:220], v[57:64], v[1:8]
	v_perm_b32 v57, v91, v129, 0x7060302
	v_perm_b32 v58, v130, v132, 0x7060302
	;; [unrolled: 1-line block ×4, first 2 shown]
	v_wmma_f32_16x16x16_bf16 v[1:8], v[141:148], v[120:127], v[1:8]
	v_perm_b32 v61, v135, v136, 0x7060302
	v_perm_b32 v62, v137, v138, 0x7060302
	;; [unrolled: 1-line block ×12, first 2 shown]
	v_wmma_f32_16x16x16_bf16 v[1:8], v[33:40], v[57:64], v[1:8]
	v_perm_b32 v38, v184, v185, 0x7060302
	v_perm_b32 v37, v182, v183, 0x7060302
	;; [unrolled: 1-line block ×4, first 2 shown]
	v_wmma_f32_16x16x16_bf16 v[1:8], v[25:32], v[120:127], v[1:8]
	v_perm_b32 v25, v167, v168, 0x7060302
	v_perm_b32 v26, v169, v170, 0x7060302
	;; [unrolled: 1-line block ×12, first 2 shown]
	; sched_barrier mask(0x00000000)
	s_waitcnt lgkmcnt(0)
	s_barrier
	; sched_barrier mask(0x00000000)
	v_wmma_f32_16x16x16_bf16 v[1:8], v[17:24], v[25:32], v[1:8]
	s_delay_alu instid0(VALU_DEP_1)
	v_wmma_f32_16x16x16_bf16 v[1:8], v[9:16], v[33:40], v[1:8]
	; sched_barrier mask(0x00000000)
	s_setprio 0
	; sched_barrier mask(0x00000000)
	scratch_load_b32 v9, off, off offset:100 ; 4-byte Folded Reload
	v_lshl_add_u32 v0, v72, 1, v69
	v_dual_mov_b32 v228, v254 :: v_dual_mov_b32 v231, v253
	v_dual_mov_b32 v227, v133 :: v_dual_mov_b32 v230, v252
	s_waitcnt vmcnt(0)
	s_delay_alu instid0(VALU_DEP_3)
	v_lshl_add_u32 v89, v9, 1, v0
	ds_store_b128 v0, v[53:56]
	ds_store_b128 v89, v[49:52] offset:256
	scratch_load_b32 v0, off, off           ; 4-byte Folded Reload
	s_waitcnt vmcnt(0)
	ds_store_b128 v0, v[45:48] offset:4096
	ds_store_b128 v242, v[41:44] offset:4096
	s_waitcnt lgkmcnt(0)
	s_barrier
	scratch_load_b32 v225, off, off offset:140 ; 4-byte Folded Reload
	s_waitcnt vmcnt(0)
	ds_load_b128 v[69:72], v225 offset:4096
	ds_load_b128 v[65:68], v133
	scratch_load_b32 v229, off, off offset:136 ; 4-byte Folded Reload
	s_waitcnt lgkmcnt(1)
	v_lshrrev_b32_e32 v0, 4, v69
	v_lshrrev_b32_e32 v90, 8, v69
	;; [unrolled: 1-line block ×3, first 2 shown]
	v_and_or_b32 v92, v69, 15, 0x4b000000
	v_ashrrev_i32_e32 v69, 16, v69
	v_and_or_b32 v0, v0, 15, 0x4b000000
	v_and_or_b32 v93, v90, 15, 0x4b000000
	v_mov_b32_e32 v74, v210
	v_and_or_b32 v94, v91, 15, 0x4b000000
	v_and_or_b32 v95, v69, 15, 0x4b000000
	v_add_f32_e32 v91, 0xcb000008, v0
	v_lshrrev_b32_e32 v96, 4, v69
	v_lshrrev_b32_e32 v97, 8, v69
	;; [unrolled: 1-line block ×3, first 2 shown]
	s_delay_alu instid0(VALU_DEP_3) | instskip(NEXT) | instid1(VALU_DEP_2)
	v_and_or_b32 v0, v96, 15, 0x4b000000
	v_and_or_b32 v69, v69, 15, 0x4b000000
	v_add_f32_e32 v90, 0xcb000008, v92
	s_delay_alu instid0(VALU_DEP_3) | instskip(SKIP_4) | instid1(VALU_DEP_4)
	v_dual_add_f32 v92, 0xcb000008, v93 :: v_dual_add_f32 v121, 0xcb000008, v0
	v_and_or_b32 v93, v97, 15, 0x4b000000
	v_lshrrev_b32_e32 v0, 4, v70
	v_add_f32_e32 v123, 0xcb000008, v69
	v_lshrrev_b32_e32 v69, 8, v70
	v_add_f32_e32 v122, 0xcb000008, v93
	v_lshrrev_b32_e32 v93, 12, v70
	v_and_or_b32 v0, v0, 15, 0x4b000000
	v_add_f32_e32 v118, 0xcb000008, v94
	v_and_or_b32 v94, v70, 15, 0x4b000000
	v_ashrrev_i32_e32 v70, 16, v70
	v_and_or_b32 v93, v93, 15, 0x4b000000
	v_dual_add_f32 v125, 0xcb000008, v0 :: v_dual_add_f32 v120, 0xcb000008, v95
	v_and_or_b32 v69, v69, 15, 0x4b000000
	s_delay_alu instid0(VALU_DEP_4) | instskip(NEXT) | instid1(VALU_DEP_4)
	v_lshrrev_b32_e32 v0, 4, v70
	v_add_f32_e32 v127, 0xcb000008, v93
	v_and_or_b32 v93, v71, 15, 0x4b000000
	v_add_f32_e32 v124, 0xcb000008, v94
	v_lshrrev_b32_e32 v94, 8, v70
	v_and_or_b32 v0, v0, 15, 0x4b000000
	s_delay_alu instid0(VALU_DEP_4) | instskip(NEXT) | instid1(VALU_DEP_3)
	v_add_f32_e32 v133, 0xcb000008, v93
	v_and_or_b32 v94, v94, 15, 0x4b000000
	v_add_f32_e32 v126, 0xcb000008, v69
	v_lshrrev_b32_e32 v69, 12, v70
	v_and_or_b32 v70, v70, 15, 0x4b000000
	s_delay_alu instid0(VALU_DEP_4) | instskip(NEXT) | instid1(VALU_DEP_3)
	v_add_f32_e32 v131, 0xcb000008, v94
	v_and_or_b32 v69, v69, 15, 0x4b000000
	s_delay_alu instid0(VALU_DEP_3) | instskip(SKIP_1) | instid1(VALU_DEP_3)
	v_add_f32_e32 v129, 0xcb000008, v70
	v_lshrrev_b32_e32 v70, 12, v71
	v_add_f32_e32 v132, 0xcb000008, v69
	v_lshrrev_b32_e32 v69, 8, v71
	s_delay_alu instid0(VALU_DEP_3) | instskip(NEXT) | instid1(VALU_DEP_2)
	v_and_or_b32 v70, v70, 15, 0x4b000000
	v_and_or_b32 v69, v69, 15, 0x4b000000
	v_add_f32_e32 v130, 0xcb000008, v0
	v_lshrrev_b32_e32 v0, 4, v71
	v_ashrrev_i32_e32 v71, 16, v71
	s_delay_alu instid0(VALU_DEP_4) | instskip(NEXT) | instid1(VALU_DEP_3)
	v_add_f32_e32 v135, 0xcb000008, v69
	v_and_or_b32 v0, v0, 15, 0x4b000000
	s_delay_alu instid0(VALU_DEP_3) | instskip(SKIP_2) | instid1(VALU_DEP_4)
	v_lshrrev_b32_e32 v93, 8, v71
	v_and_or_b32 v69, v71, 15, 0x4b000000
	v_lshrrev_b32_e32 v94, 12, v71
	v_add_f32_e32 v134, 0xcb000008, v0
	v_lshrrev_b32_e32 v0, 4, v71
	v_and_or_b32 v71, v93, 15, 0x4b000000
	v_add_f32_e32 v136, 0xcb000008, v69
	v_and_or_b32 v69, v72, 15, 0x4b000000
	v_add_f32_e32 v138, 0xcb000008, v70
	v_and_or_b32 v0, v0, 15, 0x4b000000
	v_lshrrev_b32_e32 v70, 8, v72
	v_add_f32_e32 v139, 0xcb000008, v71
	v_lshrrev_b32_e32 v71, 12, v72
	v_and_or_b32 v93, v94, 15, 0x4b000000
	v_add_f32_e32 v137, 0xcb000008, v0
	v_lshrrev_b32_e32 v0, 4, v72
	v_ashrrev_i32_e32 v72, 16, v72
	v_and_or_b32 v70, v70, 15, 0x4b000000
	v_add_f32_e32 v140, 0xcb000008, v93
	v_add_f32_e32 v93, 0xcb000008, v69
	v_and_or_b32 v0, v0, 15, 0x4b000000
	v_lshrrev_b32_e32 v69, 4, v72
	v_add_f32_e32 v95, 0xcb000008, v70
	v_lshrrev_b32_e32 v70, 12, v72
	v_lshrrev_b32_e32 v94, 8, v72
	v_and_or_b32 v72, v72, 15, 0x4b000000
	v_and_or_b32 v69, v69, 15, 0x4b000000
	;; [unrolled: 1-line block ×4, first 2 shown]
	v_add_f32_e32 v0, 0xcb000008, v0
	v_and_or_b32 v94, v94, 15, 0x4b000000
	v_add_f32_e32 v97, 0xcb000008, v72
	s_delay_alu instid0(VALU_DEP_4)
	v_add_f32_e32 v99, 0xcb000008, v70
	s_waitcnt vmcnt(0)
	ds_load_b128 v[57:60], v229
	ds_load_b128 v[61:64], v252
	;; [unrolled: 1-line block ×13, first 2 shown]
	scratch_load_b32 v254, off, off offset:132 ; 4-byte Folded Reload
	ds_load_b128 v[13:16], v253
	s_clause 0x2
	scratch_load_b32 v253, off, off offset:128
	scratch_load_b32 v252, off, off offset:124
	;; [unrolled: 1-line block ×3, first 2 shown]
	s_waitcnt vmcnt(3)
	ds_load_b128 v[141:144], v254 offset:4096
	s_waitcnt vmcnt(2)
	ds_load_b128 v[145:148], v253 offset:4096
	s_waitcnt lgkmcnt(1)
	v_lshrrev_b32_e32 v70, 8, v141
	v_ashrrev_i32_e32 v100, 16, v141
	v_and_or_b32 v72, v141, 15, 0x4b000000
	v_add_f32_e32 v96, 0xcb000008, v71
	v_ashrrev_i32_e32 v108, 16, v142
	v_and_or_b32 v70, v70, 15, 0x4b000000
	v_add_f32_e32 v98, 0xcb000008, v69
	v_lshrrev_b32_e32 v69, 4, v141
	v_add_f32_e32 v101, 0xcb000008, v72
	v_lshrrev_b32_e32 v72, 8, v100
	;; [unrolled: 2-line block ×3, first 2 shown]
	v_and_or_b32 v69, v69, 15, 0x4b000000
	v_lshrrev_b32_e32 v71, 12, v141
	v_and_or_b32 v72, v72, 15, 0x4b000000
	v_ashrrev_i32_e32 v116, 16, v143
	v_and_or_b32 v70, v70, 15, 0x4b000000
	v_add_f32_e32 v102, 0xcb000008, v69
	v_lshrrev_b32_e32 v69, 4, v100
	v_and_or_b32 v100, v100, 15, 0x4b000000
	v_and_or_b32 v71, v71, 15, 0x4b000000
	v_add_f32_e32 v107, 0xcb000008, v70
	v_lshrrev_b32_e32 v70, 8, v142
	v_and_or_b32 v69, v69, 15, 0x4b000000
	v_add_f32_e32 v94, 0xcb000008, v94
	v_ashrrev_i32_e32 v141, 16, v144
	s_waitcnt lgkmcnt(0)
	v_and_or_b32 v185, v148, 15, 0x4b000000
	v_and_or_b32 v70, v70, 15, 0x4b000000
	v_add_f32_e32 v105, 0xcb000008, v69
	v_lshrrev_b32_e32 v69, 4, v142
	s_delay_alu instid0(VALU_DEP_4) | instskip(NEXT) | instid1(VALU_DEP_4)
	v_dual_add_f32 v100, 0xcb000008, v100 :: v_dual_add_f32 v185, 0xcb000008, v185
	v_add_f32_e32 v111, 0xcb000008, v70
	v_lshrrev_b32_e32 v70, 12, v108
	s_delay_alu instid0(VALU_DEP_4) | instskip(NEXT) | instid1(VALU_DEP_2)
	v_and_or_b32 v69, v69, 15, 0x4b000000
	v_and_or_b32 v70, v70, 15, 0x4b000000
	s_delay_alu instid0(VALU_DEP_2) | instskip(SKIP_1) | instid1(VALU_DEP_3)
	v_add_f32_e32 v110, 0xcb000008, v69
	v_lshrrev_b32_e32 v69, 4, v108
	v_add_f32_e32 v115, 0xcb000008, v70
	v_lshrrev_b32_e32 v70, 8, v143
	s_delay_alu instid0(VALU_DEP_3)
	v_and_or_b32 v69, v69, 15, 0x4b000000
	v_add_f32_e32 v106, 0xcb000008, v72
	v_and_or_b32 v72, v142, 15, 0x4b000000
	v_add_f32_e32 v104, 0xcb000008, v71
	v_lshrrev_b32_e32 v71, 12, v142
	v_add_f32_e32 v113, 0xcb000008, v69
	v_lshrrev_b32_e32 v69, 4, v143
	;; [unrolled: 2-line block ×3, first 2 shown]
	v_and_or_b32 v71, v71, 15, 0x4b000000
	v_and_or_b32 v70, v70, 15, 0x4b000000
	;; [unrolled: 1-line block ×5, first 2 shown]
	s_delay_alu instid0(VALU_DEP_2) | instskip(NEXT) | instid1(VALU_DEP_2)
	v_dual_add_f32 v108, 0xcb000008, v108 :: v_dual_add_f32 v119, 0xcb000008, v69
	v_add_f32_e32 v114, 0xcb000008, v72
	v_and_or_b32 v72, v143, 15, 0x4b000000
	v_add_f32_e32 v112, 0xcb000008, v71
	v_lshrrev_b32_e32 v69, 4, v116
	v_lshrrev_b32_e32 v71, 12, v143
	s_delay_alu instid0(VALU_DEP_4) | instskip(SKIP_1) | instid1(VALU_DEP_4)
	v_add_f32_e32 v117, 0xcb000008, v72
	v_lshrrev_b32_e32 v72, 8, v116
	v_and_or_b32 v69, v69, 15, 0x4b000000
	s_delay_alu instid0(VALU_DEP_4) | instskip(NEXT) | instid1(VALU_DEP_3)
	v_and_or_b32 v71, v71, 15, 0x4b000000
	v_and_or_b32 v72, v72, 15, 0x4b000000
	v_add_f32_e32 v128, 0xcb000008, v70
	v_lshrrev_b32_e32 v70, 12, v116
	v_and_or_b32 v116, v116, 15, 0x4b000000
	v_add_f32_e32 v149, 0xcb000008, v71
	v_add_f32_e32 v151, 0xcb000008, v72
	v_and_or_b32 v72, v144, 15, 0x4b000000
	v_and_or_b32 v70, v70, 15, 0x4b000000
	v_add_f32_e32 v150, 0xcb000008, v69
	v_lshrrev_b32_e32 v69, 4, v144
	v_lshrrev_b32_e32 v71, 12, v144
	s_delay_alu instid0(VALU_DEP_4) | instskip(SKIP_1) | instid1(VALU_DEP_4)
	v_dual_add_f32 v153, 0xcb000008, v72 :: v_dual_add_f32 v152, 0xcb000008, v70
	v_lshrrev_b32_e32 v70, 8, v144
	v_and_or_b32 v69, v69, 15, 0x4b000000
	v_lshrrev_b32_e32 v72, 8, v141
	v_and_or_b32 v71, v71, 15, 0x4b000000
	s_delay_alu instid0(VALU_DEP_4) | instskip(SKIP_1) | instid1(VALU_DEP_4)
	v_and_or_b32 v70, v70, 15, 0x4b000000
	v_add_f32_e32 v116, 0xcb000008, v116
	v_and_or_b32 v72, v72, 15, 0x4b000000
	v_add_f32_e32 v154, 0xcb000008, v69
	v_lshrrev_b32_e32 v69, 4, v141
	v_add_f32_e32 v155, 0xcb000008, v70
	v_lshrrev_b32_e32 v70, 12, v141
	v_add_f32_e32 v159, 0xcb000008, v72
	v_and_or_b32 v141, v141, 15, 0x4b000000
	v_and_or_b32 v69, v69, 15, 0x4b000000
	;; [unrolled: 1-line block ×4, first 2 shown]
	s_delay_alu instid0(VALU_DEP_4) | instskip(SKIP_1) | instid1(VALU_DEP_3)
	v_dual_add_f32 v156, 0xcb000008, v71 :: v_dual_add_f32 v157, 0xcb000008, v141
	v_ashrrev_i32_e32 v141, 16, v145
	v_dual_add_f32 v161, 0xcb000008, v72 :: v_dual_add_f32 v160, 0xcb000008, v70
	v_lshrrev_b32_e32 v70, 8, v145
	v_lshrrev_b32_e32 v71, 12, v145
	s_delay_alu instid0(VALU_DEP_4) | instskip(NEXT) | instid1(VALU_DEP_3)
	v_lshrrev_b32_e32 v72, 8, v141
	v_and_or_b32 v70, v70, 15, 0x4b000000
	v_add_f32_e32 v158, 0xcb000008, v69
	v_lshrrev_b32_e32 v69, 4, v145
	s_delay_alu instid0(VALU_DEP_4)
	v_and_or_b32 v72, v72, 15, 0x4b000000
	v_and_or_b32 v71, v71, 15, 0x4b000000
	v_add_f32_e32 v163, 0xcb000008, v70
	v_lshrrev_b32_e32 v70, 12, v141
	v_and_or_b32 v69, v69, 15, 0x4b000000
	v_add_f32_e32 v167, 0xcb000008, v72
	v_and_or_b32 v72, v146, 15, 0x4b000000
	v_add_f32_e32 v164, 0xcb000008, v71
	;; [unrolled: 2-line block ×3, first 2 shown]
	v_lshrrev_b32_e32 v69, 4, v141
	v_and_or_b32 v141, v141, 15, 0x4b000000
	s_delay_alu instid0(VALU_DEP_4) | instskip(SKIP_1) | instid1(VALU_DEP_4)
	v_dual_add_f32 v169, 0xcb000008, v72 :: v_dual_add_f32 v168, 0xcb000008, v70
	v_lshrrev_b32_e32 v70, 8, v146
	v_and_or_b32 v69, v69, 15, 0x4b000000
	s_delay_alu instid0(VALU_DEP_4)
	v_add_f32_e32 v165, 0xcb000008, v141
	v_ashrrev_i32_e32 v141, 16, v146
	v_lshrrev_b32_e32 v71, 12, v146
	v_and_or_b32 v70, v70, 15, 0x4b000000
	v_add_f32_e32 v166, 0xcb000008, v69
	v_lshrrev_b32_e32 v69, 4, v146
	v_lshrrev_b32_e32 v72, 8, v141
	v_and_or_b32 v71, v71, 15, 0x4b000000
	v_add_f32_e32 v171, 0xcb000008, v70
	v_lshrrev_b32_e32 v70, 12, v141
	v_and_or_b32 v69, v69, 15, 0x4b000000
	v_and_or_b32 v72, v72, 15, 0x4b000000
	v_lshrrev_b32_e32 v145, 4, v148
	v_lshrrev_b32_e32 v146, 8, v148
	v_and_or_b32 v70, v70, 15, 0x4b000000
	s_delay_alu instid0(VALU_DEP_4)
	v_dual_add_f32 v170, 0xcb000008, v69 :: v_dual_add_f32 v175, 0xcb000008, v72
	v_lshrrev_b32_e32 v69, 4, v141
	v_and_or_b32 v141, v141, 15, 0x4b000000
	v_and_or_b32 v72, v147, 15, 0x4b000000
	v_add_f32_e32 v172, 0xcb000008, v71
	v_lshrrev_b32_e32 v71, 12, v147
	v_and_or_b32 v69, v69, 15, 0x4b000000
	v_add_f32_e32 v173, 0xcb000008, v141
	v_add_f32_e32 v177, 0xcb000008, v72
	v_ashrrev_i32_e32 v141, 16, v147
	v_and_or_b32 v71, v71, 15, 0x4b000000
	v_and_or_b32 v145, v145, 15, 0x4b000000
	;; [unrolled: 1-line block ×3, first 2 shown]
	s_delay_alu instid0(VALU_DEP_4) | instskip(SKIP_3) | instid1(VALU_DEP_4)
	v_lshrrev_b32_e32 v72, 8, v141
	v_lshrrev_b32_e32 v142, 12, v141
	v_add_f32_e32 v180, 0xcb000008, v71
	v_add_f32_e32 v186, 0xcb000008, v145
	v_and_or_b32 v72, v72, 15, 0x4b000000
	v_add_f32_e32 v176, 0xcb000008, v70
	v_lshrrev_b32_e32 v70, 8, v147
	s_delay_alu instid0(VALU_DEP_3) | instskip(NEXT) | instid1(VALU_DEP_2)
	v_add_f32_e32 v183, 0xcb000008, v72
	v_and_or_b32 v70, v70, 15, 0x4b000000
	v_add_f32_e32 v174, 0xcb000008, v69
	v_lshrrev_b32_e32 v69, 4, v147
	v_lshrrev_b32_e32 v147, 12, v148
	v_ashrrev_i32_e32 v148, 16, v148
	v_add_f32_e32 v179, 0xcb000008, v70
	v_and_or_b32 v70, v141, 15, 0x4b000000
	v_and_or_b32 v69, v69, 15, 0x4b000000
	;; [unrolled: 1-line block ×3, first 2 shown]
	v_lshrrev_b32_e32 v187, 8, v148
	v_lshrrev_b32_e32 v145, 4, v148
	s_delay_alu instid0(VALU_DEP_4)
	v_dual_add_f32 v181, 0xcb000008, v70 :: v_dual_add_f32 v178, 0xcb000008, v69
	v_lshrrev_b32_e32 v69, 4, v141
	v_and_or_b32 v141, v142, 15, 0x4b000000
	v_and_or_b32 v187, v187, 15, 0x4b000000
	;; [unrolled: 1-line block ×3, first 2 shown]
	v_add_f32_e32 v188, 0xcb000008, v146
	v_and_or_b32 v69, v69, 15, 0x4b000000
	s_delay_alu instid0(VALU_DEP_4)
	v_dual_add_f32 v184, 0xcb000008, v141 :: v_dual_add_f32 v187, 0xcb000008, v187
	s_waitcnt vmcnt(1)
	ds_load_b128 v[141:144], v252 offset:4096
	v_lshrrev_b32_e32 v146, 12, v148
	v_dual_add_f32 v182, 0xcb000008, v69 :: v_dual_add_f32 v189, 0xcb000008, v147
	s_waitcnt vmcnt(0)
	ds_load_b128 v[69:72], v226
	v_and_or_b32 v148, v148, 15, 0x4b000000
	v_and_or_b32 v146, v146, 15, 0x4b000000
	s_delay_alu instid0(VALU_DEP_1) | instskip(SKIP_4) | instid1(VALU_DEP_3)
	v_dual_add_f32 v191, 0xcb000008, v145 :: v_dual_add_f32 v192, 0xcb000008, v146
	s_waitcnt lgkmcnt(1)
	v_lshrrev_b32_e32 v146, 8, v141
	v_lshrrev_b32_e32 v145, 4, v141
	;; [unrolled: 1-line block ×3, first 2 shown]
	v_and_or_b32 v146, v146, 15, 0x4b000000
	v_add_f32_e32 v190, 0xcb000008, v148
	v_and_or_b32 v148, v141, 15, 0x4b000000
	v_ashrrev_i32_e32 v141, 16, v141
	v_and_or_b32 v145, v145, 15, 0x4b000000
	v_add_f32_e32 v195, 0xcb000008, v146
	v_and_or_b32 v147, v147, 15, 0x4b000000
	v_add_f32_e32 v193, 0xcb000008, v148
	v_lshrrev_b32_e32 v148, 8, v141
	v_lshrrev_b32_e32 v146, 12, v141
	s_delay_alu instid0(VALU_DEP_2)
	v_and_or_b32 v148, v148, 15, 0x4b000000
	v_add_f32_e32 v194, 0xcb000008, v145
	v_lshrrev_b32_e32 v145, 4, v141
	v_and_or_b32 v141, v141, 15, 0x4b000000
	v_and_or_b32 v146, v146, 15, 0x4b000000
	v_add_f32_e32 v199, 0xcb000008, v148
	s_delay_alu instid0(VALU_DEP_4) | instskip(NEXT) | instid1(VALU_DEP_4)
	v_and_or_b32 v145, v145, 15, 0x4b000000
	v_add_f32_e32 v197, 0xcb000008, v141
	v_lshrrev_b32_e32 v141, 4, v142
	v_add_f32_e32 v200, 0xcb000008, v146
	v_lshrrev_b32_e32 v146, 12, v142
	;; [unrolled: 2-line block ×3, first 2 shown]
	v_and_or_b32 v141, v141, 15, 0x4b000000
	s_delay_alu instid0(VALU_DEP_4) | instskip(NEXT) | instid1(VALU_DEP_3)
	v_and_or_b32 v146, v146, 15, 0x4b000000
	v_and_or_b32 v145, v145, 15, 0x4b000000
	v_add_f32_e32 v196, 0xcb000008, v147
	v_and_or_b32 v147, v142, 15, 0x4b000000
	v_ashrrev_i32_e32 v142, 16, v142
	v_add_f32_e32 v202, 0xcb000008, v141
	v_dual_add_f32 v203, 0xcb000008, v145 :: v_dual_add_f32 v204, 0xcb000008, v146
	s_delay_alu instid0(VALU_DEP_4) | instskip(NEXT) | instid1(VALU_DEP_4)
	v_add_f32_e32 v201, 0xcb000008, v147
	v_lshrrev_b32_e32 v141, 4, v142
	v_lshrrev_b32_e32 v147, 8, v142
	v_lshrrev_b32_e32 v145, 12, v142
	v_and_or_b32 v142, v142, 15, 0x4b000000
	v_and_or_b32 v146, v143, 15, 0x4b000000
	v_and_or_b32 v141, v141, 15, 0x4b000000
	v_and_or_b32 v147, v147, 15, 0x4b000000
	v_and_or_b32 v145, v145, 15, 0x4b000000
	v_add_f32_e32 v205, 0xcb000008, v142
	v_lshrrev_b32_e32 v142, 8, v143
	v_dual_add_f32 v206, 0xcb000008, v141 :: v_dual_add_f32 v209, 0xcb000008, v146
	v_lshrrev_b32_e32 v141, 4, v143
	v_add_f32_e32 v207, 0xcb000008, v147
	s_delay_alu instid0(VALU_DEP_4)
	v_and_or_b32 v142, v142, 15, 0x4b000000
	v_add_f32_e32 v208, 0xcb000008, v145
	v_lshrrev_b32_e32 v145, 12, v143
	v_ashrrev_i32_e32 v143, 16, v143
	v_and_or_b32 v141, v141, 15, 0x4b000000
	v_add_f32_e32 v211, 0xcb000008, v142
	s_delay_alu instid0(VALU_DEP_4) | instskip(NEXT) | instid1(VALU_DEP_4)
	v_and_or_b32 v145, v145, 15, 0x4b000000
	v_lshrrev_b32_e32 v146, 8, v143
	v_lshrrev_b32_e32 v142, 12, v143
	s_delay_alu instid0(VALU_DEP_2) | instskip(SKIP_2) | instid1(VALU_DEP_4)
	v_and_or_b32 v146, v146, 15, 0x4b000000
	v_add_f32_e32 v210, 0xcb000008, v141
	v_lshrrev_b32_e32 v141, 4, v143
	v_and_or_b32 v142, v142, 15, 0x4b000000
	v_and_or_b32 v143, v143, 15, 0x4b000000
	v_add_f32_e32 v215, 0xcb000008, v146
	s_delay_alu instid0(VALU_DEP_4) | instskip(NEXT) | instid1(VALU_DEP_4)
	v_and_or_b32 v141, v141, 15, 0x4b000000
	v_add_f32_e32 v216, 0xcb000008, v142
	v_lshrrev_b32_e32 v142, 8, v144
	v_add_f32_e32 v213, 0xcb000008, v143
	v_lshrrev_b32_e32 v143, 12, v144
	;; [unrolled: 2-line block ×3, first 2 shown]
	v_and_or_b32 v142, v142, 15, 0x4b000000
	v_add_f32_e32 v212, 0xcb000008, v145
	v_and_or_b32 v145, v144, 15, 0x4b000000
	v_ashrrev_i32_e32 v144, 16, v144
	v_and_or_b32 v141, v141, 15, 0x4b000000
	v_add_f32_e32 v219, 0xcb000008, v142
	v_and_or_b32 v143, v143, 15, 0x4b000000
	v_add_f32_e32 v217, 0xcb000008, v145
	v_lshrrev_b32_e32 v145, 8, v144
	v_add_f32_e32 v218, 0xcb000008, v141
	v_lshrrev_b32_e32 v141, 4, v144
	v_lshrrev_b32_e32 v146, 12, v144
	v_and_or_b32 v142, v144, 15, 0x4b000000
	v_and_or_b32 v144, v145, 15, 0x4b000000
	v_add_f32_e32 v220, 0xcb000008, v143
	v_and_or_b32 v141, v141, 15, 0x4b000000
	v_and_or_b32 v145, v146, 15, 0x4b000000
	v_add_f32_e32 v221, 0xcb000008, v142
	s_delay_alu instid0(VALU_DEP_3) | instskip(NEXT) | instid1(VALU_DEP_3)
	v_dual_add_f32 v223, 0xcb000008, v144 :: v_dual_add_f32 v222, 0xcb000008, v141
	v_add_f32_e32 v224, 0xcb000008, v145
	; sched_barrier mask(0x00000000)
	s_waitcnt lgkmcnt(0)
	s_barrier
	; sched_barrier mask(0x00000000)
	v_perm_b32 v141, v90, v91, 0x7060302
	v_perm_b32 v142, v92, v118, 0x7060302
	;; [unrolled: 1-line block ×16, first 2 shown]
	v_wmma_f32_16x16x16_bf16 v[1:8], v[65:72], v[141:148], v[1:8]
	s_delay_alu instid0(VALU_DEP_1)
	v_wmma_f32_16x16x16_bf16 v[1:8], v[57:64], v[120:127], v[1:8]
	; sched_barrier mask(0x00000000)
	s_setprio 1
	; sched_barrier mask(0x00000000)
	v_perm_b32 v57, v101, v102, 0x7060302
	v_perm_b32 v58, v103, v104, 0x7060302
	;; [unrolled: 1-line block ×16, first 2 shown]
	v_wmma_f32_16x16x16_bf16 v[1:8], v[49:56], v[57:64], v[1:8]
	v_perm_b32 v54, v188, v189, 0x7060302
	v_perm_b32 v53, v185, v186, 0x7060302
	;; [unrolled: 1-line block ×4, first 2 shown]
	v_wmma_f32_16x16x16_bf16 v[1:8], v[41:48], v[65:72], v[1:8]
	v_perm_b32 v41, v161, v162, 0x7060302
	v_perm_b32 v42, v163, v164, 0x7060302
	;; [unrolled: 1-line block ×12, first 2 shown]
	v_wmma_f32_16x16x16_bf16 v[1:8], v[33:40], v[41:48], v[1:8]
	v_perm_b32 v38, v219, v220, 0x7060302
	v_perm_b32 v37, v217, v218, 0x7060302
	;; [unrolled: 1-line block ×4, first 2 shown]
	v_wmma_f32_16x16x16_bf16 v[1:8], v[25:32], v[49:56], v[1:8]
	v_perm_b32 v25, v193, v194, 0x7060302
	v_perm_b32 v26, v195, v196, 0x7060302
	;; [unrolled: 1-line block ×12, first 2 shown]
	; sched_barrier mask(0x00000000)
	s_waitcnt lgkmcnt(0)
	s_barrier
	; sched_barrier mask(0x00000000)
	v_wmma_f32_16x16x16_bf16 v[1:8], v[17:24], v[25:32], v[1:8]
	s_delay_alu instid0(VALU_DEP_1)
	v_wmma_f32_16x16x16_bf16 v[1:8], v[9:16], v[33:40], v[1:8]
	; sched_barrier mask(0x00000000)
	s_setprio 0
	; sched_barrier mask(0x00000000)
	scratch_load_b32 v0, off, off offset:224 ; 4-byte Folded Reload
	s_waitcnt vmcnt(0)
	v_lshl_add_u32 v0, v0, 1, v89
	ds_store_b128 v0, v[243:246]
	ds_store_b128 v89, v[81:84] offset:256
	scratch_load_b32 v0, off, off           ; 4-byte Folded Reload
	s_waitcnt vmcnt(0)
	ds_store_b128 v0, v[247:250] offset:4096
	ds_store_b128 v242, v[85:88] offset:4096
	s_waitcnt lgkmcnt(0)
	s_barrier
	ds_load_b128 v[69:72], v225 offset:4096
	ds_load_b128 v[65:68], v227
	ds_load_b128 v[57:60], v229
	;; [unrolled: 1-line block ×15, first 2 shown]
	ds_load_b128 v[105:108], v254 offset:4096
	ds_load_b128 v[109:112], v253 offset:4096
	s_waitcnt lgkmcnt(17)
	v_lshrrev_b32_e32 v0, 4, v69
	v_lshrrev_b32_e32 v73, 8, v69
	v_lshrrev_b32_e32 v74, 12, v69
	v_and_or_b32 v75, v69, 15, 0x4b000000
	v_ashrrev_i32_e32 v69, 16, v69
	v_and_or_b32 v0, v0, 15, 0x4b000000
	v_and_or_b32 v76, v73, 15, 0x4b000000
	;; [unrolled: 1-line block ×3, first 2 shown]
	v_add_f32_e32 v73, 0xcb000008, v75
	v_lshrrev_b32_e32 v78, 4, v69
	v_add_f32_e32 v74, 0xcb000008, v0
	v_lshrrev_b32_e32 v79, 8, v69
	v_lshrrev_b32_e32 v0, 12, v69
	v_and_or_b32 v69, v69, 15, 0x4b000000
	v_dual_add_f32 v75, 0xcb000008, v76 :: v_dual_add_f32 v76, 0xcb000008, v77
	v_and_or_b32 v78, v78, 15, 0x4b000000
	v_and_or_b32 v79, v79, 15, 0x4b000000
	;; [unrolled: 1-line block ×3, first 2 shown]
	v_add_f32_e32 v77, 0xcb000008, v69
	v_lshrrev_b32_e32 v69, 4, v70
	s_delay_alu instid0(VALU_DEP_4) | instskip(NEXT) | instid1(VALU_DEP_4)
	v_dual_add_f32 v78, 0xcb000008, v78 :: v_dual_add_f32 v79, 0xcb000008, v79
	v_add_f32_e32 v200, 0xcb000008, v0
	v_lshrrev_b32_e32 v0, 8, v70
	v_lshrrev_b32_e32 v81, 12, v70
	v_and_or_b32 v82, v70, 15, 0x4b000000
	v_and_or_b32 v69, v69, 15, 0x4b000000
	v_ashrrev_i32_e32 v70, 16, v70
	v_and_or_b32 v0, v0, 15, 0x4b000000
	v_and_or_b32 v84, v81, 15, 0x4b000000
	s_delay_alu instid0(VALU_DEP_4) | instskip(NEXT) | instid1(VALU_DEP_4)
	v_dual_add_f32 v81, 0xcb000008, v82 :: v_dual_add_f32 v82, 0xcb000008, v69
	v_lshrrev_b32_e32 v69, 4, v70
	v_lshrrev_b32_e32 v85, 8, v70
	v_and_or_b32 v89, v71, 15, 0x4b000000
	s_waitcnt lgkmcnt(1)
	v_ashrrev_i32_e32 v97, 16, v105
	s_waitcnt lgkmcnt(0)
	v_lshrrev_b32_e32 v165, 4, v112
	v_and_or_b32 v69, v69, 15, 0x4b000000
	v_add_f32_e32 v83, 0xcb000008, v0
	v_lshrrev_b32_e32 v0, 12, v70
	v_and_or_b32 v70, v70, 15, 0x4b000000
	v_and_or_b32 v87, v85, 15, 0x4b000000
	v_add_f32_e32 v86, 0xcb000008, v69
	v_lshrrev_b32_e32 v69, 4, v71
	v_and_or_b32 v0, v0, 15, 0x4b000000
	v_dual_add_f32 v84, 0xcb000008, v84 :: v_dual_add_f32 v85, 0xcb000008, v70
	v_add_f32_e32 v87, 0xcb000008, v87
	v_lshrrev_b32_e32 v70, 12, v71
	s_delay_alu instid0(VALU_DEP_4)
	v_add_f32_e32 v88, 0xcb000008, v0
	v_lshrrev_b32_e32 v0, 8, v71
	v_and_or_b32 v69, v69, 15, 0x4b000000
	v_ashrrev_i32_e32 v71, 16, v71
	v_and_or_b32 v70, v70, 15, 0x4b000000
	v_add_f32_e32 v89, 0xcb000008, v89
	v_and_or_b32 v0, v0, 15, 0x4b000000
	v_add_f32_e32 v90, 0xcb000008, v69
	v_lshrrev_b32_e32 v69, 4, v71
	v_lshrrev_b32_e32 v92, 8, v71
	;; [unrolled: 1-line block ×3, first 2 shown]
	v_add_f32_e32 v91, 0xcb000008, v0
	v_and_or_b32 v0, v71, 15, 0x4b000000
	v_and_or_b32 v69, v69, 15, 0x4b000000
	;; [unrolled: 1-line block ×4, first 2 shown]
	v_add_f32_e32 v102, 0xcb000008, v70
	s_delay_alu instid0(VALU_DEP_4) | instskip(NEXT) | instid1(VALU_DEP_3)
	v_dual_add_f32 v92, 0xcb000008, v0 :: v_dual_add_f32 v101, 0xcb000008, v69
	v_dual_add_f32 v103, 0xcb000008, v71 :: v_dual_add_f32 v104, 0xcb000008, v93
	v_lshrrev_b32_e32 v0, 4, v72
	v_and_or_b32 v69, v72, 15, 0x4b000000
	v_lshrrev_b32_e32 v70, 8, v72
	v_lshrrev_b32_e32 v71, 12, v72
	v_ashrrev_i32_e32 v72, 16, v72
	v_and_or_b32 v0, v0, 15, 0x4b000000
	v_add_f32_e32 v93, 0xcb000008, v69
	v_and_or_b32 v70, v70, 15, 0x4b000000
	v_and_or_b32 v71, v71, 15, 0x4b000000
	v_lshrrev_b32_e32 v69, 4, v72
	v_add_f32_e32 v0, 0xcb000008, v0
	v_lshrrev_b32_e32 v94, 8, v72
	s_delay_alu instid0(VALU_DEP_4)
	v_dual_add_f32 v95, 0xcb000008, v70 :: v_dual_add_f32 v96, 0xcb000008, v71
	v_lshrrev_b32_e32 v70, 12, v72
	v_and_or_b32 v72, v72, 15, 0x4b000000
	v_and_or_b32 v69, v69, 15, 0x4b000000
	;; [unrolled: 1-line block ×3, first 2 shown]
	v_lshrrev_b32_e32 v71, 12, v105
	v_and_or_b32 v70, v70, 15, 0x4b000000
	s_delay_alu instid0(VALU_DEP_4)
	v_dual_add_f32 v113, 0xcb000008, v72 :: v_dual_add_f32 v114, 0xcb000008, v69
	v_lshrrev_b32_e32 v69, 4, v105
	v_and_or_b32 v72, v105, 15, 0x4b000000
	v_add_f32_e32 v94, 0xcb000008, v94
	v_and_or_b32 v71, v71, 15, 0x4b000000
	v_lshrrev_b32_e32 v166, 8, v112
	v_and_or_b32 v69, v69, 15, 0x4b000000
	v_add_f32_e32 v115, 0xcb000008, v70
	v_lshrrev_b32_e32 v70, 8, v105
	v_add_f32_e32 v105, 0xcb000008, v72
	v_lshrrev_b32_e32 v72, 8, v97
	v_add_f32_e32 v116, 0xcb000008, v69
	v_lshrrev_b32_e32 v69, 4, v97
	v_and_or_b32 v70, v70, 15, 0x4b000000
	v_add_f32_e32 v118, 0xcb000008, v71
	v_and_or_b32 v72, v72, 15, 0x4b000000
	v_lshrrev_b32_e32 v71, 12, v106
	v_and_or_b32 v69, v69, 15, 0x4b000000
	v_add_f32_e32 v117, 0xcb000008, v70
	v_lshrrev_b32_e32 v70, 12, v97
	v_and_or_b32 v97, v97, 15, 0x4b000000
	s_delay_alu instid0(VALU_DEP_4) | instskip(SKIP_1) | instid1(VALU_DEP_4)
	v_dual_add_f32 v121, 0xcb000008, v72 :: v_dual_add_f32 v120, 0xcb000008, v69
	v_lshrrev_b32_e32 v69, 4, v106
	v_and_or_b32 v70, v70, 15, 0x4b000000
	s_delay_alu instid0(VALU_DEP_4)
	v_add_f32_e32 v119, 0xcb000008, v97
	v_and_or_b32 v72, v106, 15, 0x4b000000
	v_ashrrev_i32_e32 v97, 16, v106
	v_and_or_b32 v69, v69, 15, 0x4b000000
	v_add_f32_e32 v122, 0xcb000008, v70
	v_lshrrev_b32_e32 v70, 8, v106
	v_add_f32_e32 v106, 0xcb000008, v72
	v_and_or_b32 v71, v71, 15, 0x4b000000
	v_add_f32_e32 v123, 0xcb000008, v69
	v_lshrrev_b32_e32 v69, 4, v97
	v_and_or_b32 v70, v70, 15, 0x4b000000
	v_lshrrev_b32_e32 v72, 8, v97
	v_add_f32_e32 v125, 0xcb000008, v71
	v_lshrrev_b32_e32 v71, 12, v107
	v_and_or_b32 v69, v69, 15, 0x4b000000
	v_add_f32_e32 v124, 0xcb000008, v70
	v_lshrrev_b32_e32 v70, 12, v97
	v_and_or_b32 v97, v97, 15, 0x4b000000
	v_and_or_b32 v72, v72, 15, 0x4b000000
	v_add_f32_e32 v127, 0xcb000008, v69
	v_lshrrev_b32_e32 v69, 4, v107
	v_and_or_b32 v70, v70, 15, 0x4b000000
	v_add_f32_e32 v126, 0xcb000008, v97
	v_add_f32_e32 v128, 0xcb000008, v72
	v_and_or_b32 v72, v107, 15, 0x4b000000
	v_and_or_b32 v69, v69, 15, 0x4b000000
	v_add_f32_e32 v129, 0xcb000008, v70
	v_lshrrev_b32_e32 v70, 8, v107
	v_ashrrev_i32_e32 v97, 16, v107
	s_delay_alu instid0(VALU_DEP_4) | instskip(SKIP_1) | instid1(VALU_DEP_4)
	v_dual_add_f32 v107, 0xcb000008, v72 :: v_dual_add_f32 v130, 0xcb000008, v69
	v_and_or_b32 v71, v71, 15, 0x4b000000
	v_and_or_b32 v70, v70, 15, 0x4b000000
	s_delay_alu instid0(VALU_DEP_4) | instskip(SKIP_2) | instid1(VALU_DEP_4)
	v_lshrrev_b32_e32 v69, 4, v97
	v_lshrrev_b32_e32 v72, 8, v97
	;; [unrolled: 1-line block ×3, first 2 shown]
	v_dual_add_f32 v132, 0xcb000008, v71 :: v_dual_add_f32 v131, 0xcb000008, v70
	v_lshrrev_b32_e32 v70, 12, v97
	v_and_or_b32 v69, v69, 15, 0x4b000000
	v_and_or_b32 v97, v97, 15, 0x4b000000
	v_and_or_b32 v72, v72, 15, 0x4b000000
	v_lshrrev_b32_e32 v71, 12, v108
	v_and_or_b32 v70, v70, 15, 0x4b000000
	v_add_f32_e32 v134, 0xcb000008, v69
	v_lshrrev_b32_e32 v69, 4, v108
	v_add_f32_e32 v135, 0xcb000008, v72
	s_delay_alu instid0(VALU_DEP_4)
	v_dual_add_f32 v133, 0xcb000008, v97 :: v_dual_add_f32 v136, 0xcb000008, v70
	v_lshrrev_b32_e32 v70, 8, v108
	v_and_or_b32 v72, v108, 15, 0x4b000000
	v_and_or_b32 v69, v69, 15, 0x4b000000
	v_ashrrev_i32_e32 v97, 16, v108
	v_and_or_b32 v71, v71, 15, 0x4b000000
	v_and_or_b32 v70, v70, 15, 0x4b000000
	s_delay_alu instid0(VALU_DEP_4) | instskip(NEXT) | instid1(VALU_DEP_4)
	v_dual_add_f32 v108, 0xcb000008, v72 :: v_dual_add_f32 v137, 0xcb000008, v69
	v_lshrrev_b32_e32 v69, 4, v97
	v_lshrrev_b32_e32 v72, 8, v97
	s_delay_alu instid0(VALU_DEP_4) | instskip(SKIP_1) | instid1(VALU_DEP_4)
	v_dual_add_f32 v138, 0xcb000008, v70 :: v_dual_add_f32 v139, 0xcb000008, v71
	v_lshrrev_b32_e32 v70, 12, v97
	v_and_or_b32 v69, v69, 15, 0x4b000000
	v_and_or_b32 v97, v97, 15, 0x4b000000
	v_and_or_b32 v72, v72, 15, 0x4b000000
	v_lshrrev_b32_e32 v71, 12, v109
	v_and_or_b32 v70, v70, 15, 0x4b000000
	v_add_f32_e32 v141, 0xcb000008, v69
	v_lshrrev_b32_e32 v69, 4, v109
	v_add_f32_e32 v142, 0xcb000008, v72
	s_delay_alu instid0(VALU_DEP_4)
	v_dual_add_f32 v140, 0xcb000008, v97 :: v_dual_add_f32 v143, 0xcb000008, v70
	v_lshrrev_b32_e32 v70, 8, v109
	v_and_or_b32 v72, v109, 15, 0x4b000000
	v_and_or_b32 v69, v69, 15, 0x4b000000
	v_ashrrev_i32_e32 v97, 16, v109
	v_and_or_b32 v71, v71, 15, 0x4b000000
	v_and_or_b32 v70, v70, 15, 0x4b000000
	s_delay_alu instid0(VALU_DEP_4) | instskip(NEXT) | instid1(VALU_DEP_4)
	v_dual_add_f32 v109, 0xcb000008, v72 :: v_dual_add_f32 v144, 0xcb000008, v69
	v_lshrrev_b32_e32 v69, 4, v97
	v_lshrrev_b32_e32 v72, 8, v97
	s_delay_alu instid0(VALU_DEP_4) | instskip(SKIP_1) | instid1(VALU_DEP_4)
	;; [unrolled: 23-line block ×3, first 2 shown]
	v_dual_add_f32 v152, 0xcb000008, v70 :: v_dual_add_f32 v153, 0xcb000008, v71
	v_lshrrev_b32_e32 v70, 12, v97
	v_and_or_b32 v69, v69, 15, 0x4b000000
	v_and_or_b32 v97, v97, 15, 0x4b000000
	;; [unrolled: 1-line block ×3, first 2 shown]
	v_lshrrev_b32_e32 v71, 12, v111
	v_and_or_b32 v70, v70, 15, 0x4b000000
	v_add_f32_e32 v155, 0xcb000008, v69
	v_lshrrev_b32_e32 v69, 4, v111
	v_add_f32_e32 v156, 0xcb000008, v72
	s_delay_alu instid0(VALU_DEP_4)
	v_dual_add_f32 v154, 0xcb000008, v97 :: v_dual_add_f32 v157, 0xcb000008, v70
	v_lshrrev_b32_e32 v70, 8, v111
	v_and_or_b32 v72, v111, 15, 0x4b000000
	v_and_or_b32 v69, v69, 15, 0x4b000000
	v_ashrrev_i32_e32 v97, 16, v111
	v_and_or_b32 v71, v71, 15, 0x4b000000
	v_and_or_b32 v70, v70, 15, 0x4b000000
	s_delay_alu instid0(VALU_DEP_4) | instskip(NEXT) | instid1(VALU_DEP_4)
	v_dual_add_f32 v111, 0xcb000008, v72 :: v_dual_add_f32 v158, 0xcb000008, v69
	v_lshrrev_b32_e32 v69, 4, v97
	v_lshrrev_b32_e32 v72, 8, v97
	;; [unrolled: 1-line block ×3, first 2 shown]
	v_dual_add_f32 v159, 0xcb000008, v70 :: v_dual_add_f32 v160, 0xcb000008, v71
	v_and_or_b32 v70, v97, 15, 0x4b000000
	v_and_or_b32 v69, v69, 15, 0x4b000000
	;; [unrolled: 1-line block ×5, first 2 shown]
	s_delay_alu instid0(VALU_DEP_4) | instskip(NEXT) | instid1(VALU_DEP_3)
	v_dual_add_f32 v161, 0xcb000008, v70 :: v_dual_add_f32 v162, 0xcb000008, v69
	v_dual_add_f32 v163, 0xcb000008, v72 :: v_dual_add_f32 v164, 0xcb000008, v97
	ds_load_b128 v[69:72], v226
	ds_load_b128 v[97:100], v252 offset:4096
	v_ashrrev_i32_e32 v112, 16, v112
	v_and_or_b32 v165, v165, 15, 0x4b000000
	v_and_or_b32 v166, v166, 15, 0x4b000000
	;; [unrolled: 1-line block ×3, first 2 shown]
	v_add_f32_e32 v168, 0xcb000008, v168
	v_lshrrev_b32_e32 v169, 4, v112
	v_add_f32_e32 v165, 0xcb000008, v165
	v_lshrrev_b32_e32 v170, 8, v112
	v_lshrrev_b32_e32 v171, 12, v112
	v_and_or_b32 v112, v112, 15, 0x4b000000
	v_and_or_b32 v169, v169, 15, 0x4b000000
	v_dual_add_f32 v166, 0xcb000008, v166 :: v_dual_add_f32 v167, 0xcb000008, v167
	v_and_or_b32 v170, v170, 15, 0x4b000000
	v_and_or_b32 v171, v171, 15, 0x4b000000
	s_delay_alu instid0(VALU_DEP_4) | instskip(NEXT) | instid1(VALU_DEP_2)
	v_dual_add_f32 v112, 0xcb000008, v112 :: v_dual_add_f32 v169, 0xcb000008, v169
	v_dual_add_f32 v170, 0xcb000008, v170 :: v_dual_add_f32 v171, 0xcb000008, v171
	s_waitcnt lgkmcnt(0)
	v_lshrrev_b32_e32 v172, 4, v97
	v_lshrrev_b32_e32 v173, 8, v97
	v_lshrrev_b32_e32 v174, 12, v97
	v_and_or_b32 v175, v97, 15, 0x4b000000
	v_ashrrev_i32_e32 v97, 16, v97
	v_lshrrev_b32_e32 v179, 4, v98
	v_lshrrev_b32_e32 v180, 8, v98
	v_lshrrev_b32_e32 v181, 12, v98
	v_and_or_b32 v182, v98, 15, 0x4b000000
	v_ashrrev_i32_e32 v98, 16, v98
	;; [unrolled: 5-line block ×4, first 2 shown]
	v_lshrrev_b32_e32 v176, 4, v97
	v_lshrrev_b32_e32 v177, 8, v97
	;; [unrolled: 1-line block ×12, first 2 shown]
	v_and_or_b32 v172, v172, 15, 0x4b000000
	v_and_or_b32 v173, v173, 15, 0x4b000000
	;; [unrolled: 1-line block ×28, first 2 shown]
	v_dual_add_f32 v175, 0xcb000008, v175 :: v_dual_add_f32 v172, 0xcb000008, v172
	v_dual_add_f32 v173, 0xcb000008, v173 :: v_dual_add_f32 v174, 0xcb000008, v174
	;; [unrolled: 1-line block ×16, first 2 shown]
	; sched_barrier mask(0x00000000)
	s_barrier
	; sched_barrier mask(0x00000000)
	v_perm_b32 v73, v73, v74, 0x7060302
	v_perm_b32 v74, v75, v76, 0x7060302
	;; [unrolled: 1-line block ×16, first 2 shown]
	v_wmma_f32_16x16x16_bf16 v[1:8], v[65:72], v[73:80], v[1:8]
	s_delay_alu instid0(VALU_DEP_1)
	v_wmma_f32_16x16x16_bf16 v[1:8], v[57:64], v[81:88], v[1:8]
	; sched_barrier mask(0x00000000)
	s_setprio 1
	; sched_barrier mask(0x00000000)
	v_perm_b32 v57, v105, v116, 0x7060302
	v_perm_b32 v58, v117, v118, 0x7060302
	;; [unrolled: 1-line block ×16, first 2 shown]
	v_wmma_f32_16x16x16_bf16 v[1:8], v[49:56], v[57:64], v[1:8]
	v_perm_b32 v54, v166, v167, 0x7060302
	v_perm_b32 v53, v168, v165, 0x7060302
	;; [unrolled: 1-line block ×4, first 2 shown]
	v_wmma_f32_16x16x16_bf16 v[1:8], v[41:48], v[65:72], v[1:8]
	v_perm_b32 v41, v109, v144, 0x7060302
	v_perm_b32 v42, v145, v146, 0x7060302
	v_perm_b32 v43, v147, v148, 0x7060302
	v_perm_b32 v44, v149, v150, 0x7060302
	v_perm_b32 v45, v110, v151, 0x7060302
	v_perm_b32 v46, v152, v153, 0x7060302
	v_perm_b32 v47, v154, v155, 0x7060302
	v_perm_b32 v48, v156, v157, 0x7060302
	v_perm_b32 v55, v112, v169, 0x7060302
	v_perm_b32 v52, v163, v164, 0x7060302
	v_perm_b32 v51, v161, v162, 0x7060302
	v_perm_b32 v56, v170, v171, 0x7060302
	v_wmma_f32_16x16x16_bf16 v[1:8], v[33:40], v[41:48], v[1:8]
	v_perm_b32 v38, v194, v195, 0x7060302
	v_perm_b32 v37, v196, v193, 0x7060302
	v_perm_b32 v34, v187, v188, 0x7060302
	v_perm_b32 v33, v189, v186, 0x7060302
	v_wmma_f32_16x16x16_bf16 v[1:8], v[25:32], v[49:56], v[1:8]
	v_perm_b32 v25, v175, v172, 0x7060302
	v_perm_b32 v26, v173, v174, 0x7060302
	;; [unrolled: 1-line block ×12, first 2 shown]
	; sched_barrier mask(0x00000000)
	s_waitcnt lgkmcnt(0)
	s_barrier
	; sched_barrier mask(0x00000000)
	v_wmma_f32_16x16x16_bf16 v[1:8], v[17:24], v[25:32], v[1:8]
	s_delay_alu instid0(VALU_DEP_1)
	v_wmma_f32_16x16x16_bf16 v[1:8], v[9:16], v[33:40], v[1:8]
	; sched_barrier mask(0x00000000)
	s_setprio 0
	; sched_barrier mask(0x00000000)
	s_clause 0x2
	scratch_load_b32 v0, off, off offset:228
	scratch_load_b32 v18, off, off offset:232
	;; [unrolled: 1-line block ×3, first 2 shown]
	s_waitcnt lgkmcnt(0)
	s_clause 0x1
	scratch_load_b32 v15, off, off offset:144
	scratch_load_b32 v16, off, off offset:240
	v_bfe_u32 v9, v1, 16, 1
	v_cmp_o_f32_e32 vcc_lo, v1, v1
	v_bfe_u32 v12, v2, 16, 1
	v_bfe_u32 v17, v8, 16, 1
	s_waitcnt vmcnt(0)
	s_barrier
	v_add3_u32 v9, v1, v9, 0x7fff
	s_mov_b32 s15, 0x31004000
	v_add3_u32 v12, v2, v12, 0x7fff
	s_delay_alu instid0(VALU_DEP_2) | instskip(NEXT) | instid1(VALU_DEP_1)
	v_lshrrev_b32_e32 v9, 16, v9
	v_cndmask_b32_e32 v1, 0x7fc0, v9, vcc_lo
	s_delay_alu instid0(VALU_DEP_3) | instskip(SKIP_1) | instid1(VALU_DEP_2)
	v_lshrrev_b32_e32 v9, 16, v12
	v_cmp_o_f32_e32 vcc_lo, v2, v2
	v_cndmask_b32_e32 v2, 0x7fc0, v9, vcc_lo
	v_cmp_o_f32_e32 vcc_lo, v3, v3
	v_lshlrev_b32_e32 v0, 5, v0
	v_lshl_or_b32 v11, s11, 4, v18
	s_delay_alu instid0(VALU_DEP_2) | instskip(NEXT) | instid1(VALU_DEP_2)
	v_and_b32_e32 v0, 0x200, v0
	v_mul_lo_u32 v14, v11, s9
	v_cmp_gt_i32_e64 s0, s4, v11
	s_delay_alu instid0(VALU_DEP_3) | instskip(SKIP_2) | instid1(VALU_DEP_2)
	v_or3_b32 v0, v0, v15, v16
	v_bfe_u32 v15, v3, 16, 1
	v_bfe_u32 v16, v6, 16, 1
	v_add3_u32 v12, v3, v15, 0x7fff
	v_bfe_u32 v15, v4, 16, 1
	s_delay_alu instid0(VALU_DEP_2) | instskip(NEXT) | instid1(VALU_DEP_2)
	v_lshrrev_b32_e32 v9, 16, v12
	v_add3_u32 v12, v4, v15, 0x7fff
	v_bfe_u32 v15, v5, 16, 1
	s_delay_alu instid0(VALU_DEP_3) | instskip(NEXT) | instid1(VALU_DEP_3)
	v_dual_cndmask_b32 v3, 0x7fc0, v9 :: v_dual_and_b32 v10, 56, v10
	v_lshrrev_b32_e32 v9, 16, v12
	s_delay_alu instid0(VALU_DEP_3)
	v_add3_u32 v12, v5, v15, 0x7fff
	v_cmp_o_f32_e32 vcc_lo, v4, v4
	v_add3_u32 v15, v6, v16, 0x7fff
	v_bfe_u32 v16, v7, 16, 1
	v_or_b32_e32 v13, s6, v10
	v_cndmask_b32_e32 v4, 0x7fc0, v9, vcc_lo
	v_lshrrev_b32_e32 v9, 16, v12
	v_cmp_o_f32_e32 vcc_lo, v5, v5
	v_lshlrev_b32_e32 v0, 1, v0
	v_add3_u32 v12, v7, v16, 0x7fff
	v_lshrrev_b32_e32 v15, 16, v15
	v_add3_u32 v16, v8, v17, 0x7fff
	v_cndmask_b32_e32 v5, 0x7fc0, v9, vcc_lo
	v_cmp_o_f32_e32 vcc_lo, v6, v6
	v_lshrrev_b32_e32 v9, 16, v12
	s_delay_alu instid0(VALU_DEP_4) | instskip(SKIP_2) | instid1(VALU_DEP_4)
	v_lshrrev_b32_e32 v12, 16, v16
	v_cndmask_b32_e32 v6, 0x7fc0, v15, vcc_lo
	v_cmp_o_f32_e32 vcc_lo, v7, v7
	v_dual_cndmask_b32 v7, 0x7fc0, v9 :: v_dual_lshlrev_b32 v10, 1, v10
	v_cmp_o_f32_e32 vcc_lo, v8, v8
	s_delay_alu instid0(VALU_DEP_2)
	v_lshl_or_b32 v9, v18, 7, v10
	v_cndmask_b32_e32 v8, 0x7fc0, v12, vcc_lo
	ds_store_b16 v0, v1
	ds_store_b16 v0, v2 offset:128
	ds_store_b16 v0, v3 offset:256
	;; [unrolled: 1-line block ×7, first 2 shown]
	v_or_b32_e32 v4, 4, v13
	s_waitcnt lgkmcnt(0)
	s_barrier
	ds_load_2addr_b64 v[0:3], v9 offset1:1
	v_cmp_gt_i32_e32 vcc_lo, s5, v13
	v_cmp_gt_i32_e64 s1, s5, v4
	v_add_lshl_u32 v4, v14, v13, 1
	s_and_b32 s3, s0, vcc_lo
	s_delay_alu instid0(VALU_DEP_2) | instskip(SKIP_3) | instid1(SALU_CYCLE_1)
	s_and_b32 s0, s0, s1
	v_cndmask_b32_e64 v5, 0x80000000, 0, s3
	v_cndmask_b32_e64 v6, 0x80000000, 0, s0
	s_add_i32 s0, s5, s2
	s_lshl_b32 s14, s0, 1
	s_delay_alu instid0(VALU_DEP_2) | instskip(NEXT) | instid1(VALU_DEP_2)
	v_add_nc_u32_e32 v5, v5, v4
	v_add_nc_u32_e32 v4, v4, v6
	s_waitcnt lgkmcnt(0)
	s_clause 0x1
	buffer_store_b64 v[0:1], v5, s[12:15], 0 offen
	buffer_store_b64 v[2:3], v4, s[12:15], 0 offen offset:8
	s_nop 0
	s_sendmsg sendmsg(MSG_DEALLOC_VGPRS)
	s_endpgm
	.section	.rodata,"a",@progbits
	.p2align	6, 0x0
	.amdhsa_kernel _ZN2ck27kernel_gemm_xdl_cshuffle_v3INS_28GridwiseGemm_xdl_cshuffle_v3INS_13tensor_layout4gemm8RowMajorENS3_11ColumnMajorES4_tNS_7pk_i4_tEfttNS_16tensor_operation12element_wise11PassThroughES9_S9_LNS7_6device18GemmSpecializationE0ELi128ELi16ELi64ELi128ELi8ELi32ELi16ELi16ELi1ELi1ENS_8SequenceIJLi16ELi8ELi1EEEENSC_IJLi1ELi0ELi2EEEESE_Li2ELi8ELi8ELb0ELi0ENSC_IJLi4ELi32ELi1EEEESE_SE_Li2ELi32ELi32ELb0ELi0ELi1ELi1ENSC_IJLi1ELi16ELi1ELi8EEEELi4ELNS_26BlockGemmPipelineSchedulerE1ELNS_24BlockGemmPipelineVersionE1EttLb0ELb1ELb0ELi0ELb0EEELb1ELNS_25InMemoryDataOperationEnumE0ELi2ELNS_10TailNumberE10EEEvNT_8ArgumentE
		.amdhsa_group_segment_fixed_size 8192
		.amdhsa_private_segment_fixed_size 248
		.amdhsa_kernarg_size 112
		.amdhsa_user_sgpr_count 14
		.amdhsa_user_sgpr_dispatch_ptr 0
		.amdhsa_user_sgpr_queue_ptr 0
		.amdhsa_user_sgpr_kernarg_segment_ptr 1
		.amdhsa_user_sgpr_dispatch_id 0
		.amdhsa_user_sgpr_private_segment_size 0
		.amdhsa_wavefront_size32 1
		.amdhsa_uses_dynamic_stack 0
		.amdhsa_enable_private_segment 1
		.amdhsa_system_sgpr_workgroup_id_x 1
		.amdhsa_system_sgpr_workgroup_id_y 0
		.amdhsa_system_sgpr_workgroup_id_z 1
		.amdhsa_system_sgpr_workgroup_info 0
		.amdhsa_system_vgpr_workitem_id 0
		.amdhsa_next_free_vgpr 256
		.amdhsa_next_free_sgpr 29
		.amdhsa_reserve_vcc 1
		.amdhsa_float_round_mode_32 0
		.amdhsa_float_round_mode_16_64 0
		.amdhsa_float_denorm_mode_32 3
		.amdhsa_float_denorm_mode_16_64 3
		.amdhsa_dx10_clamp 1
		.amdhsa_ieee_mode 1
		.amdhsa_fp16_overflow 0
		.amdhsa_workgroup_processor_mode 1
		.amdhsa_memory_ordered 1
		.amdhsa_forward_progress 0
		.amdhsa_shared_vgpr_count 0
		.amdhsa_exception_fp_ieee_invalid_op 0
		.amdhsa_exception_fp_denorm_src 0
		.amdhsa_exception_fp_ieee_div_zero 0
		.amdhsa_exception_fp_ieee_overflow 0
		.amdhsa_exception_fp_ieee_underflow 0
		.amdhsa_exception_fp_ieee_inexact 0
		.amdhsa_exception_int_div_zero 0
	.end_amdhsa_kernel
	.section	.text._ZN2ck27kernel_gemm_xdl_cshuffle_v3INS_28GridwiseGemm_xdl_cshuffle_v3INS_13tensor_layout4gemm8RowMajorENS3_11ColumnMajorES4_tNS_7pk_i4_tEfttNS_16tensor_operation12element_wise11PassThroughES9_S9_LNS7_6device18GemmSpecializationE0ELi128ELi16ELi64ELi128ELi8ELi32ELi16ELi16ELi1ELi1ENS_8SequenceIJLi16ELi8ELi1EEEENSC_IJLi1ELi0ELi2EEEESE_Li2ELi8ELi8ELb0ELi0ENSC_IJLi4ELi32ELi1EEEESE_SE_Li2ELi32ELi32ELb0ELi0ELi1ELi1ENSC_IJLi1ELi16ELi1ELi8EEEELi4ELNS_26BlockGemmPipelineSchedulerE1ELNS_24BlockGemmPipelineVersionE1EttLb0ELb1ELb0ELi0ELb0EEELb1ELNS_25InMemoryDataOperationEnumE0ELi2ELNS_10TailNumberE10EEEvNT_8ArgumentE,"axG",@progbits,_ZN2ck27kernel_gemm_xdl_cshuffle_v3INS_28GridwiseGemm_xdl_cshuffle_v3INS_13tensor_layout4gemm8RowMajorENS3_11ColumnMajorES4_tNS_7pk_i4_tEfttNS_16tensor_operation12element_wise11PassThroughES9_S9_LNS7_6device18GemmSpecializationE0ELi128ELi16ELi64ELi128ELi8ELi32ELi16ELi16ELi1ELi1ENS_8SequenceIJLi16ELi8ELi1EEEENSC_IJLi1ELi0ELi2EEEESE_Li2ELi8ELi8ELb0ELi0ENSC_IJLi4ELi32ELi1EEEESE_SE_Li2ELi32ELi32ELb0ELi0ELi1ELi1ENSC_IJLi1ELi16ELi1ELi8EEEELi4ELNS_26BlockGemmPipelineSchedulerE1ELNS_24BlockGemmPipelineVersionE1EttLb0ELb1ELb0ELi0ELb0EEELb1ELNS_25InMemoryDataOperationEnumE0ELi2ELNS_10TailNumberE10EEEvNT_8ArgumentE,comdat
.Lfunc_end9:
	.size	_ZN2ck27kernel_gemm_xdl_cshuffle_v3INS_28GridwiseGemm_xdl_cshuffle_v3INS_13tensor_layout4gemm8RowMajorENS3_11ColumnMajorES4_tNS_7pk_i4_tEfttNS_16tensor_operation12element_wise11PassThroughES9_S9_LNS7_6device18GemmSpecializationE0ELi128ELi16ELi64ELi128ELi8ELi32ELi16ELi16ELi1ELi1ENS_8SequenceIJLi16ELi8ELi1EEEENSC_IJLi1ELi0ELi2EEEESE_Li2ELi8ELi8ELb0ELi0ENSC_IJLi4ELi32ELi1EEEESE_SE_Li2ELi32ELi32ELb0ELi0ELi1ELi1ENSC_IJLi1ELi16ELi1ELi8EEEELi4ELNS_26BlockGemmPipelineSchedulerE1ELNS_24BlockGemmPipelineVersionE1EttLb0ELb1ELb0ELi0ELb0EEELb1ELNS_25InMemoryDataOperationEnumE0ELi2ELNS_10TailNumberE10EEEvNT_8ArgumentE, .Lfunc_end9-_ZN2ck27kernel_gemm_xdl_cshuffle_v3INS_28GridwiseGemm_xdl_cshuffle_v3INS_13tensor_layout4gemm8RowMajorENS3_11ColumnMajorES4_tNS_7pk_i4_tEfttNS_16tensor_operation12element_wise11PassThroughES9_S9_LNS7_6device18GemmSpecializationE0ELi128ELi16ELi64ELi128ELi8ELi32ELi16ELi16ELi1ELi1ENS_8SequenceIJLi16ELi8ELi1EEEENSC_IJLi1ELi0ELi2EEEESE_Li2ELi8ELi8ELb0ELi0ENSC_IJLi4ELi32ELi1EEEESE_SE_Li2ELi32ELi32ELb0ELi0ELi1ELi1ENSC_IJLi1ELi16ELi1ELi8EEEELi4ELNS_26BlockGemmPipelineSchedulerE1ELNS_24BlockGemmPipelineVersionE1EttLb0ELb1ELb0ELi0ELb0EEELb1ELNS_25InMemoryDataOperationEnumE0ELi2ELNS_10TailNumberE10EEEvNT_8ArgumentE
                                        ; -- End function
	.section	.AMDGPU.csdata,"",@progbits
; Kernel info:
; codeLenInByte = 28540
; NumSgprs: 31
; NumVgprs: 256
; ScratchSize: 248
; MemoryBound: 0
; FloatMode: 240
; IeeeMode: 1
; LDSByteSize: 8192 bytes/workgroup (compile time only)
; SGPRBlocks: 3
; VGPRBlocks: 31
; NumSGPRsForWavesPerEU: 31
; NumVGPRsForWavesPerEU: 256
; Occupancy: 5
; WaveLimiterHint : 0
; COMPUTE_PGM_RSRC2:SCRATCH_EN: 1
; COMPUTE_PGM_RSRC2:USER_SGPR: 14
; COMPUTE_PGM_RSRC2:TRAP_HANDLER: 0
; COMPUTE_PGM_RSRC2:TGID_X_EN: 1
; COMPUTE_PGM_RSRC2:TGID_Y_EN: 0
; COMPUTE_PGM_RSRC2:TGID_Z_EN: 1
; COMPUTE_PGM_RSRC2:TIDIG_COMP_CNT: 0
	.section	.text._ZN2ck27kernel_gemm_xdl_cshuffle_v3INS_28GridwiseGemm_xdl_cshuffle_v3INS_13tensor_layout4gemm8RowMajorENS3_11ColumnMajorES4_tNS_7pk_i4_tEfttNS_16tensor_operation12element_wise11PassThroughES9_S9_LNS7_6device18GemmSpecializationE0ELi128ELi16ELi64ELi128ELi8ELi32ELi16ELi16ELi1ELi1ENS_8SequenceIJLi16ELi8ELi1EEEENSC_IJLi1ELi0ELi2EEEESE_Li2ELi8ELi8ELb0ELi0ENSC_IJLi4ELi32ELi1EEEESE_SE_Li2ELi32ELi32ELb0ELi0ELi1ELi1ENSC_IJLi1ELi16ELi1ELi8EEEELi4ELNS_26BlockGemmPipelineSchedulerE1ELNS_24BlockGemmPipelineVersionE1EttLb0ELb1ELb0ELi0ELb0EEELb1ELNS_25InMemoryDataOperationEnumE0ELi2ELNS_10TailNumberE3EEEvNT_8ArgumentE,"axG",@progbits,_ZN2ck27kernel_gemm_xdl_cshuffle_v3INS_28GridwiseGemm_xdl_cshuffle_v3INS_13tensor_layout4gemm8RowMajorENS3_11ColumnMajorES4_tNS_7pk_i4_tEfttNS_16tensor_operation12element_wise11PassThroughES9_S9_LNS7_6device18GemmSpecializationE0ELi128ELi16ELi64ELi128ELi8ELi32ELi16ELi16ELi1ELi1ENS_8SequenceIJLi16ELi8ELi1EEEENSC_IJLi1ELi0ELi2EEEESE_Li2ELi8ELi8ELb0ELi0ENSC_IJLi4ELi32ELi1EEEESE_SE_Li2ELi32ELi32ELb0ELi0ELi1ELi1ENSC_IJLi1ELi16ELi1ELi8EEEELi4ELNS_26BlockGemmPipelineSchedulerE1ELNS_24BlockGemmPipelineVersionE1EttLb0ELb1ELb0ELi0ELb0EEELb1ELNS_25InMemoryDataOperationEnumE0ELi2ELNS_10TailNumberE3EEEvNT_8ArgumentE,comdat
	.protected	_ZN2ck27kernel_gemm_xdl_cshuffle_v3INS_28GridwiseGemm_xdl_cshuffle_v3INS_13tensor_layout4gemm8RowMajorENS3_11ColumnMajorES4_tNS_7pk_i4_tEfttNS_16tensor_operation12element_wise11PassThroughES9_S9_LNS7_6device18GemmSpecializationE0ELi128ELi16ELi64ELi128ELi8ELi32ELi16ELi16ELi1ELi1ENS_8SequenceIJLi16ELi8ELi1EEEENSC_IJLi1ELi0ELi2EEEESE_Li2ELi8ELi8ELb0ELi0ENSC_IJLi4ELi32ELi1EEEESE_SE_Li2ELi32ELi32ELb0ELi0ELi1ELi1ENSC_IJLi1ELi16ELi1ELi8EEEELi4ELNS_26BlockGemmPipelineSchedulerE1ELNS_24BlockGemmPipelineVersionE1EttLb0ELb1ELb0ELi0ELb0EEELb1ELNS_25InMemoryDataOperationEnumE0ELi2ELNS_10TailNumberE3EEEvNT_8ArgumentE ; -- Begin function _ZN2ck27kernel_gemm_xdl_cshuffle_v3INS_28GridwiseGemm_xdl_cshuffle_v3INS_13tensor_layout4gemm8RowMajorENS3_11ColumnMajorES4_tNS_7pk_i4_tEfttNS_16tensor_operation12element_wise11PassThroughES9_S9_LNS7_6device18GemmSpecializationE0ELi128ELi16ELi64ELi128ELi8ELi32ELi16ELi16ELi1ELi1ENS_8SequenceIJLi16ELi8ELi1EEEENSC_IJLi1ELi0ELi2EEEESE_Li2ELi8ELi8ELb0ELi0ENSC_IJLi4ELi32ELi1EEEESE_SE_Li2ELi32ELi32ELb0ELi0ELi1ELi1ENSC_IJLi1ELi16ELi1ELi8EEEELi4ELNS_26BlockGemmPipelineSchedulerE1ELNS_24BlockGemmPipelineVersionE1EttLb0ELb1ELb0ELi0ELb0EEELb1ELNS_25InMemoryDataOperationEnumE0ELi2ELNS_10TailNumberE3EEEvNT_8ArgumentE
	.globl	_ZN2ck27kernel_gemm_xdl_cshuffle_v3INS_28GridwiseGemm_xdl_cshuffle_v3INS_13tensor_layout4gemm8RowMajorENS3_11ColumnMajorES4_tNS_7pk_i4_tEfttNS_16tensor_operation12element_wise11PassThroughES9_S9_LNS7_6device18GemmSpecializationE0ELi128ELi16ELi64ELi128ELi8ELi32ELi16ELi16ELi1ELi1ENS_8SequenceIJLi16ELi8ELi1EEEENSC_IJLi1ELi0ELi2EEEESE_Li2ELi8ELi8ELb0ELi0ENSC_IJLi4ELi32ELi1EEEESE_SE_Li2ELi32ELi32ELb0ELi0ELi1ELi1ENSC_IJLi1ELi16ELi1ELi8EEEELi4ELNS_26BlockGemmPipelineSchedulerE1ELNS_24BlockGemmPipelineVersionE1EttLb0ELb1ELb0ELi0ELb0EEELb1ELNS_25InMemoryDataOperationEnumE0ELi2ELNS_10TailNumberE3EEEvNT_8ArgumentE
	.p2align	8
	.type	_ZN2ck27kernel_gemm_xdl_cshuffle_v3INS_28GridwiseGemm_xdl_cshuffle_v3INS_13tensor_layout4gemm8RowMajorENS3_11ColumnMajorES4_tNS_7pk_i4_tEfttNS_16tensor_operation12element_wise11PassThroughES9_S9_LNS7_6device18GemmSpecializationE0ELi128ELi16ELi64ELi128ELi8ELi32ELi16ELi16ELi1ELi1ENS_8SequenceIJLi16ELi8ELi1EEEENSC_IJLi1ELi0ELi2EEEESE_Li2ELi8ELi8ELb0ELi0ENSC_IJLi4ELi32ELi1EEEESE_SE_Li2ELi32ELi32ELb0ELi0ELi1ELi1ENSC_IJLi1ELi16ELi1ELi8EEEELi4ELNS_26BlockGemmPipelineSchedulerE1ELNS_24BlockGemmPipelineVersionE1EttLb0ELb1ELb0ELi0ELb0EEELb1ELNS_25InMemoryDataOperationEnumE0ELi2ELNS_10TailNumberE3EEEvNT_8ArgumentE,@function
_ZN2ck27kernel_gemm_xdl_cshuffle_v3INS_28GridwiseGemm_xdl_cshuffle_v3INS_13tensor_layout4gemm8RowMajorENS3_11ColumnMajorES4_tNS_7pk_i4_tEfttNS_16tensor_operation12element_wise11PassThroughES9_S9_LNS7_6device18GemmSpecializationE0ELi128ELi16ELi64ELi128ELi8ELi32ELi16ELi16ELi1ELi1ENS_8SequenceIJLi16ELi8ELi1EEEENSC_IJLi1ELi0ELi2EEEESE_Li2ELi8ELi8ELb0ELi0ENSC_IJLi4ELi32ELi1EEEESE_SE_Li2ELi32ELi32ELb0ELi0ELi1ELi1ENSC_IJLi1ELi16ELi1ELi8EEEELi4ELNS_26BlockGemmPipelineSchedulerE1ELNS_24BlockGemmPipelineVersionE1EttLb0ELb1ELb0ELi0ELb0EEELb1ELNS_25InMemoryDataOperationEnumE0ELi2ELNS_10TailNumberE3EEEvNT_8ArgumentE: ; @_ZN2ck27kernel_gemm_xdl_cshuffle_v3INS_28GridwiseGemm_xdl_cshuffle_v3INS_13tensor_layout4gemm8RowMajorENS3_11ColumnMajorES4_tNS_7pk_i4_tEfttNS_16tensor_operation12element_wise11PassThroughES9_S9_LNS7_6device18GemmSpecializationE0ELi128ELi16ELi64ELi128ELi8ELi32ELi16ELi16ELi1ELi1ENS_8SequenceIJLi16ELi8ELi1EEEENSC_IJLi1ELi0ELi2EEEESE_Li2ELi8ELi8ELb0ELi0ENSC_IJLi4ELi32ELi1EEEESE_SE_Li2ELi32ELi32ELb0ELi0ELi1ELi1ENSC_IJLi1ELi16ELi1ELi8EEEELi4ELNS_26BlockGemmPipelineSchedulerE1ELNS_24BlockGemmPipelineVersionE1EttLb0ELb1ELb0ELi0ELb0EEELb1ELNS_25InMemoryDataOperationEnumE0ELi2ELNS_10TailNumberE3EEEvNT_8ArgumentE
; %bb.0:
	s_clause 0x3
	s_load_b256 s[4:11], s[0:1], 0x10
	s_load_b32 s2, s[0:1], 0x68
	s_load_b64 s[20:21], s[0:1], 0x60
	s_load_b128 s[16:19], s[0:1], 0x50
	s_mov_b64 s[22:23], 0
	s_waitcnt lgkmcnt(0)
	s_cmp_gt_i32 s10, 1
	s_cselect_b32 s3, -1, 0
	s_bitcmp1_b32 s2, 0
	s_cselect_b32 s2, -1, 0
	s_delay_alu instid0(SALU_CYCLE_1) | instskip(NEXT) | instid1(SALU_CYCLE_1)
	s_and_b32 s2, s3, s2
	s_and_not1_b32 vcc_lo, exec_lo, s2
	s_cbranch_vccnz .LBB10_2
; %bb.1:
	s_mul_i32 s2, s4, s15
	s_delay_alu instid0(SALU_CYCLE_1) | instskip(NEXT) | instid1(SALU_CYCLE_1)
	s_mul_i32 s22, s2, s5
	s_ashr_i32 s23, s22, 31
.LBB10_2:
	s_clause 0x1
	s_load_b32 s2, s[0:1], 0x34
	s_load_b32 s25, s[0:1], 0x3c
	s_add_i32 s0, s4, -1
	s_mov_b32 s24, 0
	s_cmp_lt_u32 s0, 16
	s_cbranch_scc1 .LBB10_6
; %bb.3:
	s_add_i32 s0, s5, -1
	s_delay_alu instid0(SALU_CYCLE_1)
	s_cmp_lt_u32 s0, 64
	s_mov_b32 s0, 0
	s_cbranch_scc1 .LBB10_10
; %bb.4:
	s_add_i32 s0, s4, 15
	s_add_i32 s1, s5, 63
	s_ashr_i32 s3, s0, 31
	s_ashr_i32 s11, s1, 31
	s_lshr_b32 s3, s3, 28
	s_lshr_b32 s11, s11, 26
	s_add_i32 s0, s0, s3
	s_add_i32 s3, s1, s11
	s_ashr_i32 s1, s0, 4
	s_ashr_i32 s0, s3, 6
	;; [unrolled: 1-line block ×3, first 2 shown]
	s_mul_i32 s3, s0, s1
	s_delay_alu instid0(SALU_CYCLE_1) | instskip(NEXT) | instid1(SALU_CYCLE_1)
	s_add_i32 s11, s3, 7
	s_ashr_i32 s12, s11, 31
	s_delay_alu instid0(SALU_CYCLE_1) | instskip(NEXT) | instid1(SALU_CYCLE_1)
	s_lshr_b32 s12, s12, 29
	s_add_i32 s27, s11, s12
	s_lshr_b32 s11, s13, 29
	s_and_b32 s12, s27, -8
	s_add_i32 s26, s14, s11
	s_sub_i32 s11, s3, s12
	s_and_b32 s3, s26, -8
	s_add_i32 s11, s11, 8
	s_sub_i32 s12, s14, s3
	s_ashr_i32 s13, s27, 3
	s_cmp_gt_i32 s12, s11
	s_cbranch_scc1 .LBB10_7
; %bb.5:
	s_mul_i32 s3, s13, s12
	s_ashr_i32 s14, s26, 3
	s_cbranch_execz .LBB10_8
	s_branch .LBB10_9
.LBB10_6:
	s_mov_b32 s11, 0
	s_branch .LBB10_11
.LBB10_7:
                                        ; implicit-def: $sgpr3
	s_ashr_i32 s14, s26, 3
.LBB10_8:
	s_add_i32 s3, s13, -1
	s_delay_alu instid0(SALU_CYCLE_1) | instskip(NEXT) | instid1(SALU_CYCLE_1)
	s_mul_i32 s3, s3, s12
	s_add_i32 s3, s11, s3
.LBB10_9:
	s_abs_i32 s11, s0
	s_add_i32 s3, s3, s14
	v_cvt_f32_u32_e32 v1, s11
	s_sub_i32 s13, 0, s11
	s_abs_i32 s14, s3
	s_delay_alu instid0(VALU_DEP_1) | instskip(SKIP_2) | instid1(VALU_DEP_1)
	v_rcp_iflag_f32_e32 v1, v1
	s_waitcnt_depctr 0xfff
	v_mul_f32_e32 v1, 0x4f7ffffe, v1
	v_cvt_u32_f32_e32 v1, v1
	s_delay_alu instid0(VALU_DEP_1) | instskip(NEXT) | instid1(VALU_DEP_1)
	v_readfirstlane_b32 s12, v1
	s_mul_i32 s13, s13, s12
	s_delay_alu instid0(SALU_CYCLE_1) | instskip(NEXT) | instid1(SALU_CYCLE_1)
	s_mul_hi_u32 s13, s12, s13
	s_add_i32 s12, s12, s13
	s_xor_b32 s13, s3, s0
	s_mul_hi_u32 s12, s14, s12
	s_ashr_i32 s13, s13, 31
	s_mul_i32 s26, s12, s11
	s_delay_alu instid0(SALU_CYCLE_1)
	s_sub_i32 s14, s14, s26
	s_add_i32 s26, s12, 1
	s_sub_i32 s27, s14, s11
	s_cmp_ge_u32 s14, s11
	s_cselect_b32 s12, s26, s12
	s_cselect_b32 s14, s27, s14
	s_add_i32 s26, s12, 1
	s_cmp_ge_u32 s14, s11
	s_cselect_b32 s11, s26, s12
	s_lshr_b32 s12, s1, 30
	s_xor_b32 s11, s11, s13
	s_add_i32 s12, s1, s12
	s_sub_i32 s11, s11, s13
	s_and_b32 s12, s12, -4
	s_mul_i32 s13, s11, s0
	s_sub_i32 s1, s1, s12
	s_sub_i32 s3, s3, s13
	s_cmp_ge_i32 s11, s12
	s_cselect_b32 s1, s1, 4
	s_ashr_i32 s13, s11, 31
	s_abs_i32 s12, s1
	s_lshr_b32 s13, s13, 30
	v_cvt_f32_u32_e32 v1, s12
	s_add_i32 s13, s11, s13
	s_sub_i32 s26, 0, s12
	s_and_b32 s13, s13, -4
	s_delay_alu instid0(SALU_CYCLE_1) | instskip(SKIP_2) | instid1(SALU_CYCLE_1)
	s_sub_i32 s13, s11, s13
	v_rcp_iflag_f32_e32 v1, v1
	s_mul_i32 s0, s13, s0
	s_add_i32 s3, s0, s3
	s_waitcnt_depctr 0xfff
	v_mul_f32_e32 v1, 0x4f7ffffe, v1
	s_delay_alu instid0(VALU_DEP_1) | instskip(NEXT) | instid1(VALU_DEP_1)
	v_cvt_u32_f32_e32 v1, v1
	v_readfirstlane_b32 s14, v1
	s_delay_alu instid0(VALU_DEP_1) | instskip(NEXT) | instid1(SALU_CYCLE_1)
	s_mul_i32 s26, s26, s14
	s_mul_hi_u32 s0, s14, s26
	s_abs_i32 s26, s3
	s_add_i32 s14, s14, s0
	s_delay_alu instid0(SALU_CYCLE_1)
	s_mul_hi_u32 s0, s26, s14
	s_xor_b32 s14, s3, s1
	s_mul_i32 s27, s0, s12
	s_ashr_i32 s14, s14, 31
	s_sub_i32 s26, s26, s27
	s_add_i32 s27, s0, 1
	s_sub_i32 s28, s26, s12
	s_cmp_ge_u32 s26, s12
	s_cselect_b32 s0, s27, s0
	s_cselect_b32 s26, s28, s26
	s_add_i32 s27, s0, 1
	s_cmp_ge_u32 s26, s12
	s_cselect_b32 s0, s27, s0
	s_delay_alu instid0(SALU_CYCLE_1) | instskip(NEXT) | instid1(SALU_CYCLE_1)
	s_xor_b32 s0, s0, s14
	s_sub_i32 s0, s0, s14
	s_delay_alu instid0(SALU_CYCLE_1) | instskip(NEXT) | instid1(SALU_CYCLE_1)
	s_mul_i32 s1, s0, s1
	s_sub_i32 s1, s3, s1
	s_delay_alu instid0(SALU_CYCLE_1) | instskip(NEXT) | instid1(SALU_CYCLE_1)
	s_add_i32 s1, s1, s11
	s_sub_i32 s14, s1, s13
.LBB10_10:
	s_delay_alu instid0(SALU_CYCLE_1)
	s_mov_b32 s11, s14
	s_mov_b32 s14, s0
.LBB10_11:
	s_waitcnt lgkmcnt(0)
	s_mul_i32 s0, s2, s15
	v_lshrrev_b32_e32 v33, 3, v0
	s_ashr_i32 s1, s0, 31
	s_mul_i32 s3, s0, s5
	s_lshl_b64 s[0:1], s[0:1], 1
	s_lshr_b32 s3, s3, 1
	s_add_u32 s0, s16, s0
	s_addc_u32 s1, s17, s1
	s_add_u32 s12, s18, s3
	s_addc_u32 s13, s19, 0
	s_add_u32 s16, 0, 0
	s_addc_u32 s17, s4, -1
	s_ashr_i32 s3, s8, 31
	s_add_i32 s10, s10, -1
	s_lshr_b32 s3, s3, 25
	s_mul_i32 s18, s10, s2
	s_add_i32 s3, s8, s3
	s_lshl_b32 s8, s5, 7
	s_ashr_i32 s19, s3, 7
	s_sub_i32 s3, s6, s18
	v_and_b32_e32 v22, 14, v33
	s_cmp_lt_u32 s15, s10
	v_lshrrev_b32_e32 v2, 1, v0
	s_cselect_b32 s2, s2, s3
	s_lshl_b32 s3, s11, 4
	v_and_b32_e32 v3, 3, v0
	v_dual_mov_b32 v92, 3 :: v_dual_add_nc_u32 v1, s3, v22
	s_lshl_b32 s6, s14, 6
	v_and_b32_e32 v69, 15, v0
	s_delay_alu instid0(VALU_DEP_3) | instskip(NEXT) | instid1(VALU_DEP_3)
	v_lshlrev_b32_e32 v4, 5, v3
	v_mul_lo_u32 v23, v1, s7
	v_and_b32_e32 v1, 62, v2
	s_mul_i32 s10, s17, s7
	s_mov_b32 s3, 0x31004000
	s_add_i32 s2, s2, s10
	s_mul_i32 s14, s5, s19
	v_add_nc_u32_e32 v1, s6, v1
	s_lshl_b32 s2, s2, 1
	v_lshl_add_u32 v5, v69, 3, v23
	s_mov_b32 s15, s3
	s_lshl_b32 s14, s14, 6
	v_lshl_or_b32 v1, v1, 7, v4
	v_or_b32_e32 v118, 1, v33
	v_lshlrev_b32_e32 v4, 1, v5
	v_add_lshl_u32 v10, v5, s7, 1
	s_clause 0x1
	buffer_load_b128 v[6:9], v4, s[0:3], 0 offen
	buffer_load_b128 v[10:13], v10, s[0:3], 0 offen
	v_add_nc_u32_e32 v15, s8, v1
	v_add_nc_u32_e32 v14, 0x80, v1
	v_ashrrev_i32_e32 v1, 1, v1
	v_add_nc_u32_e32 v27, 0x80, v5
	v_add_nc_u32_e32 v5, 0x100, v5
	v_add_nc_u32_e32 v25, 0x80, v15
	v_ashrrev_i32_e32 v4, 1, v14
	v_ashrrev_i32_e32 v24, 1, v15
	v_add_nc_u32_e32 v26, s8, v15
	s_clause 0x1
	buffer_load_b128 v[14:17], v1, s[12:15], 0 offen
	buffer_load_b128 v[18:21], v4, s[12:15], 0 offen
	v_ashrrev_i32_e32 v1, 1, v25
	s_clause 0x1
	buffer_load_b128 v[73:76], v24, s[12:15], 0 offen
	buffer_load_b128 v[34:37], v1, s[12:15], 0 offen
	v_add_nc_u32_e32 v25, 0x80, v26
	v_lshlrev_b32_e32 v28, 1, v27
	v_add_lshl_u32 v27, v27, s7, 1
	v_lshlrev_b32_e32 v29, 1, v5
	v_add_lshl_u32 v5, v5, s7, 1
	v_ashrrev_i32_e32 v4, 1, v26
	v_ashrrev_i32_e32 v1, 1, v25
	v_bfe_u32 v24, v0, 2, 3
	v_and_b32_e32 v25, 1, v0
	v_lshlrev_b32_e32 v124, 1, v23
	s_ashr_i32 s10, s25, 31
	v_add_nc_u32_e32 v89, s8, v26
	s_lshr_b32 s10, s10, 28
	v_or_b32_e32 v30, 2, v25
	v_or_b32_e32 v31, 4, v25
	;; [unrolled: 1-line block ×3, first 2 shown]
	s_add_i32 s25, s25, s10
	s_waitcnt vmcnt(0)
	scratch_store_b128 off, v[34:37], off   ; 16-byte Folded Spill
	s_clause 0x3
	buffer_load_b128 v[85:88], v28, s[0:3], 0 offen
	buffer_load_b128 v[81:84], v27, s[0:3], 0 offen
	;; [unrolled: 1-line block ×4, first 2 shown]
	s_clause 0x1
	buffer_load_b128 v[49:52], v4, s[12:15], 0 offen
	buffer_load_b128 v[53:56], v1, s[12:15], 0 offen
	v_lshrrev_b32_e32 v4, 2, v0
	v_mov_b32_e32 v1, 0
	v_lshlrev_b32_e32 v29, 3, v0
	v_bfe_u32 v5, v0, 1, 3
	scratch_store_b32 off, v0, off offset:236 ; 4-byte Folded Spill
	v_lshlrev_b32_e32 v28, 8, v4
	v_and_b32_e32 v0, 48, v2
	scratch_store_b32 off, v33, off offset:240 ; 4-byte Folded Spill
	v_mov_b32_e32 v4, v1
	v_lshlrev_b32_e32 v2, 4, v69
	v_xor_b32_e32 v126, v22, v69
	scratch_store_b32 off, v0, off offset:248 ; 4-byte Folded Spill
	v_lshlrev_b32_e32 v33, 7, v22
	v_or_b32_e32 v36, 1, v22
	v_sub_nc_u32_e32 v22, v118, v22
	v_or_b32_e32 v35, v0, v69
	scratch_store_b32 off, v69, off offset:132 ; 4-byte Folded Spill
	v_lshl_or_b32 v33, v126, 3, v33
	v_xor_b32_e32 v36, v36, v69
	v_lshlrev_b32_e32 v0, 7, v22
	s_clause 0x1
	scratch_store_b32 off, v2, off offset:216
	scratch_store_b32 off, v29, off offset:244
	v_and_or_b32 v29, v29, 8, v5
	v_mov_b32_e32 v2, v1
	scratch_store_b32 off, v0, off offset:220 ; 4-byte Folded Spill
	v_lshlrev_b32_e32 v27, 1, v3
	v_add_nc_u32_e32 v0, -1, v22
	v_lshlrev_b32_e32 v37, 8, v29
	v_xor_b32_e32 v38, 1, v29
	v_xor_b32_e32 v39, 2, v29
	;; [unrolled: 1-line block ×3, first 2 shown]
	v_or_b32_e32 v27, 1, v27
	v_lshl_or_b32 v69, v29, 4, v37
	v_sub_nc_u32_e32 v37, v38, v29
	v_xor_b32_e32 v40, 3, v29
	v_sub_nc_u32_e32 v38, v39, v29
	v_xor_b32_e32 v24, v27, v24
	v_bfe_u32 v27, v35, 1, 3
	v_lshrrev_b32_e32 v35, 1, v35
	v_xor_b32_e32 v57, 4, v29
	v_sub_nc_u32_e32 v39, v40, v29
	scratch_store_b32 off, v0, off offset:224 ; 4-byte Folded Spill
	v_xor_b32_e32 v25, v27, v25
	v_xor_b32_e32 v30, v27, v30
	;; [unrolled: 1-line block ×4, first 2 shown]
	v_lshlrev_b32_e32 v32, 8, v35
	v_lshlrev_b32_e32 v35, 4, v37
	;; [unrolled: 1-line block ×3, first 2 shown]
	v_xor_b32_e32 v58, 5, v29
	v_sub_nc_u32_e32 v40, v57, v29
	v_lshlrev_b32_e32 v38, 4, v39
	v_add_nc_u32_e32 v0, v69, v35
	v_xor_b32_e32 v59, 6, v29
	v_sub_nc_u32_e32 v57, v58, v29
	v_lshlrev_b32_e32 v39, 4, v40
	v_xor_b32_e32 v60, 7, v29
	scratch_store_b32 off, v0, off offset:136 ; 4-byte Folded Spill
	v_add_nc_u32_e32 v0, v69, v37
	v_sub_nc_u32_e32 v58, v59, v29
	v_lshlrev_b32_e32 v40, 4, v57
	v_xor_b32_e32 v61, 8, v29
	v_sub_nc_u32_e32 v59, v60, v29
	scratch_store_b32 off, v0, off offset:156 ; 4-byte Folded Spill
	v_add_nc_u32_e32 v0, v69, v38
	v_lshlrev_b32_e32 v57, 4, v58
	v_xor_b32_e32 v62, 9, v29
	v_sub_nc_u32_e32 v60, v61, v29
	v_lshlrev_b32_e32 v58, 4, v59
	scratch_store_b32 off, v0, off offset:160 ; 4-byte Folded Spill
	v_add_nc_u32_e32 v0, v69, v39
	v_xor_b32_e32 v63, 10, v29
	v_sub_nc_u32_e32 v61, v62, v29
	v_lshlrev_b32_e32 v59, 4, v60
	v_xor_b32_e32 v64, 11, v29
	scratch_store_b32 off, v0, off offset:164 ; 4-byte Folded Spill
	v_add_nc_u32_e32 v0, v69, v40
	v_sub_nc_u32_e32 v62, v63, v29
	v_lshlrev_b32_e32 v60, 4, v61
	v_xor_b32_e32 v65, 12, v29
	v_sub_nc_u32_e32 v63, v64, v29
	scratch_store_b32 off, v0, off offset:168 ; 4-byte Folded Spill
	v_add_nc_u32_e32 v0, v69, v57
	v_lshlrev_b32_e32 v61, 4, v62
	v_xor_b32_e32 v66, 13, v29
	v_sub_nc_u32_e32 v64, v65, v29
	v_lshlrev_b32_e32 v62, 4, v63
	scratch_store_b32 off, v0, off offset:172 ; 4-byte Folded Spill
	v_add_nc_u32_e32 v0, v69, v58
	v_xor_b32_e32 v67, 14, v29
	v_sub_nc_u32_e32 v65, v66, v29
	v_lshlrev_b32_e32 v63, 4, v64
	v_xor_b32_e32 v68, 15, v29
	scratch_store_b32 off, v0, off offset:176 ; 4-byte Folded Spill
	v_add_nc_u32_e32 v0, v69, v59
	v_sub_nc_u32_e32 v66, v67, v29
	v_lshlrev_b32_e32 v64, 4, v65
	v_sub_nc_u32_e32 v29, v68, v29
	v_sub_nc_u32_e32 v68, v24, v34
	scratch_store_b32 off, v0, off offset:180 ; 4-byte Folded Spill
	v_add_nc_u32_e32 v0, v69, v60
	v_lshlrev_b32_e32 v65, 4, v66
	v_lshlrev_b32_e32 v29, 4, v29
	v_lshl_or_b32 v28, v34, 5, v28
	v_sub_nc_u32_e32 v24, v34, v24
	scratch_store_b32 off, v0, off offset:184 ; 4-byte Folded Spill
	v_add_nc_u32_e32 v0, v69, v61
	v_lshl_or_b32 v32, v25, 5, v32
	v_sub_nc_u32_e32 v30, v30, v25
	v_sub_nc_u32_e32 v31, v31, v25
	;; [unrolled: 1-line block ×3, first 2 shown]
	scratch_store_b32 off, v0, off offset:188 ; 4-byte Folded Spill
	v_add_nc_u32_e32 v0, v69, v62
	v_lshlrev_b32_e32 v27, 5, v68
	v_lshlrev_b32_e32 v68, 5, v24
	v_lshrrev_b32_e32 v34, 1, v28
	v_lshlrev_b32_e32 v25, 5, v25
	scratch_store_b32 off, v0, off offset:192 ; 4-byte Folded Spill
	v_add_nc_u32_e32 v0, v69, v63
	v_add_nc_u32_e32 v24, v27, v28
	v_lshlrev_b32_e32 v28, 5, v31
	v_add_nc_u16 v25, v32, v25
	v_sub_nc_u32_e32 v22, v36, v126
	scratch_store_b32 off, v0, off offset:196 ; 4-byte Folded Spill
	v_add_nc_u32_e32 v0, v69, v64
	v_add_nc_u32_e32 v127, v24, v68
	v_ashrrev_i16 v25, 1, v25
	v_lshlrev_b32_e32 v67, 1, v33
	v_lshlrev_b32_e32 v66, 3, v22
	scratch_store_b32 off, v0, off offset:200 ; 4-byte Folded Spill
	v_add_nc_u32_e32 v0, v69, v65
	s_clause 0x1
	scratch_store_b32 off, v0, off offset:204
	scratch_store_b32 off, v69, off offset:152
	v_add_nc_u32_e32 v0, v69, v29
	scratch_store_b32 off, v27, off offset:228 ; 4-byte Folded Spill
	v_lshlrev_b32_e32 v27, 5, v30
	v_ashrrev_i32_e32 v29, 1, v24
	v_lshl_add_u32 v22, v22, 4, v67
	scratch_store_b32 off, v0, off offset:208 ; 4-byte Folded Spill
	v_lshrrev_b32_e32 v0, 1, v32
	v_add_nc_u16 v24, v32, v27
	v_add_nc_u16 v27, v32, v28
	v_add_nc_u32_e32 v28, s7, v23
	v_sub_nc_u32_e32 v36, v126, v36
	scratch_store_b32 off, v0, off offset:212 ; 4-byte Folded Spill
	v_ashrrev_i16 v23, 1, v24
	v_ashrrev_i16 v24, 1, v27
	v_or_b32_e32 v70, 12, v3
	v_dual_mov_b32 v3, v1 :: v_dual_lshlrev_b32 v36, 3, v36
	s_delay_alu instid0(VALU_DEP_4) | instskip(SKIP_2) | instid1(VALU_DEP_4)
	v_bfe_i32 v0, v23, 0, 16
	v_mov_b32_e32 v5, v1
	v_lshl_add_u32 v125, v28, 1, 0x500
	v_add3_u32 v57, v66, v33, v36
	s_ashr_i32 s7, s25, 4
	scratch_store_b32 off, v0, off offset:148 ; 4-byte Folded Spill
	v_bfe_i32 v0, v24, 0, 16
	s_add_i32 s7, s7, -3
	scratch_store_b32 off, v0, off offset:144 ; 4-byte Folded Spill
	v_bfe_i32 v0, v25, 0, 16
	s_clause 0x1
	scratch_store_b32 off, v68, off offset:232
	scratch_store_b32 off, v0, off offset:140
	ds_store_b128 v67, v[6:9]
	ds_store_b128 v22, v[10:13] offset:256
	scratch_load_b32 v117, off, off offset:148 ; 4-byte Folded Reload
	v_mov_b32_e32 v6, v1
	v_mov_b32_e32 v7, v1
	;; [unrolled: 1-line block ×3, first 2 shown]
	ds_store_b128 v34, v[14:17] offset:4096
	ds_store_b128 v29, v[18:21] offset:4096
.LBB10_12:                              ; =>This Inner Loop Header: Depth=1
	s_waitcnt vmcnt(4)
	scratch_store_b128 off, v[45:48], off offset:116 ; 16-byte Folded Spill
	s_waitcnt vmcnt(3)
	scratch_store_b128 off, v[41:44], off offset:100 ; 16-byte Folded Spill
	s_waitcnt vmcnt(1)
	s_clause 0x1
	scratch_store_b128 off, v[53:56], off offset:84
	scratch_store_b32 off, v70, off offset:16
	s_waitcnt vmcnt(0) lgkmcnt(0)
	s_waitcnt_vscnt null, 0x0
	s_barrier
	s_clause 0x5
	scratch_load_b32 v0, off, off offset:212
	scratch_load_b32 v53, off, off offset:136
	;; [unrolled: 1-line block ×6, first 2 shown]
	s_waitcnt vmcnt(5)
	ds_load_b128 v[9:12], v0 offset:4096
	v_mov_b32_e32 v80, v0
	scratch_load_b32 v0, off, off offset:152 ; 4-byte Folded Reload
	s_waitcnt vmcnt(4)
	ds_load_b128 v[29:32], v43
	s_waitcnt vmcnt(2)
	ds_load_b128 v[128:131], v101
	v_mov_b32_e32 v111, v101
	scratch_load_b32 v101, off, off offset:200 ; 4-byte Folded Reload
	ds_load_b128 v[33:36], v41
	s_waitcnt vmcnt(2)
	ds_load_b128 v[17:20], v45
	s_waitcnt lgkmcnt(4)
	v_lshrrev_b32_e32 v66, 4, v9
	v_lshrrev_b32_e32 v67, 8, v9
	;; [unrolled: 1-line block ×3, first 2 shown]
	v_and_or_b32 v69, v9, 15, 0x4b000000
	v_ashrrev_i32_e32 v70, 16, v9
	v_and_or_b32 v66, v66, 15, 0x4b000000
	v_lshrrev_b32_e32 v71, 4, v10
	v_lshrrev_b32_e32 v72, 8, v10
	;; [unrolled: 1-line block ×3, first 2 shown]
	v_and_or_b32 v91, v10, 15, 0x4b000000
	v_ashrrev_i32_e32 v152, 16, v10
	v_lshrrev_b32_e32 v153, 4, v11
	v_lshrrev_b32_e32 v154, 8, v11
	;; [unrolled: 1-line block ×3, first 2 shown]
	v_and_or_b32 v156, v11, 15, 0x4b000000
	v_ashrrev_i32_e32 v157, 16, v11
	v_lshrrev_b32_e32 v158, 4, v12
	v_and_or_b32 v159, v12, 15, 0x4b000000
	v_lshrrev_b32_e32 v160, 8, v12
	v_lshrrev_b32_e32 v161, 12, v12
	v_ashrrev_i32_e32 v162, 16, v12
	ds_load_b128 v[9:12], v117 offset:4096
	v_and_or_b32 v67, v67, 15, 0x4b000000
	v_lshrrev_b32_e32 v223, 4, v70
	v_and_or_b32 v68, v68, 15, 0x4b000000
	v_lshrrev_b32_e32 v225, 12, v70
	v_lshrrev_b32_e32 v224, 8, v70
	v_and_or_b32 v70, v70, 15, 0x4b000000
	v_and_or_b32 v223, v223, 15, 0x4b000000
	;; [unrolled: 1-line block ×4, first 2 shown]
	v_lshrrev_b32_e32 v226, 4, v152
	v_lshrrev_b32_e32 v227, 8, v152
	v_lshrrev_b32_e32 v228, 12, v152
	v_and_or_b32 v152, v152, 15, 0x4b000000
	v_and_or_b32 v90, v90, 15, 0x4b000000
	;; [unrolled: 1-line block ×6, first 2 shown]
	v_add_f32_e32 v69, 0xcb000008, v69
	v_and_or_b32 v228, v228, 15, 0x4b000000
	v_dual_add_f32 v66, 0xcb000008, v66 :: v_dual_add_f32 v67, 0xcb000008, v67
	v_dual_add_f32 v68, 0xcb000008, v68 :: v_dual_add_f32 v223, 0xcb000008, v223
	s_delay_alu instid0(VALU_DEP_3)
	v_dual_add_f32 v228, 0xcb000008, v228 :: v_dual_add_f32 v225, 0xcb000008, v225
	v_dual_add_f32 v70, 0xcb000008, v70 :: v_dual_add_f32 v91, 0xcb000008, v91
	v_add_f32_e32 v71, 0xcb000008, v71
	v_add_f32_e32 v229, 0xcb000008, v152
	v_and_or_b32 v152, v153, 15, 0x4b000000
	v_add_f32_e32 v90, 0xcb000008, v90
	v_and_or_b32 v153, v154, 15, 0x4b000000
	v_and_or_b32 v154, v155, 15, 0x4b000000
	v_lshrrev_b32_e32 v155, 12, v157
	v_add_f32_e32 v231, 0xcb000008, v152
	v_lshrrev_b32_e32 v152, 4, v157
	s_delay_alu instid0(VALU_DEP_4) | instskip(NEXT) | instid1(VALU_DEP_4)
	v_dual_add_f32 v72, 0xcb000008, v72 :: v_dual_add_f32 v233, 0xcb000008, v154
	v_and_or_b32 v155, v155, 15, 0x4b000000
	v_and_or_b32 v154, v161, 15, 0x4b000000
	v_add_f32_e32 v161, 0xcb000008, v159
	v_and_or_b32 v152, v152, 15, 0x4b000000
	v_dual_add_f32 v226, 0xcb000008, v226 :: v_dual_add_f32 v227, 0xcb000008, v227
	v_add_f32_e32 v224, 0xcb000008, v224
	s_delay_alu instid0(VALU_DEP_3) | instskip(SKIP_3) | instid1(VALU_DEP_3)
	v_add_f32_e32 v235, 0xcb000008, v152
	v_and_or_b32 v152, v158, 15, 0x4b000000
	v_add_f32_e32 v232, 0xcb000008, v153
	v_lshrrev_b32_e32 v153, 8, v157
	v_add_f32_e32 v237, 0xcb000008, v152
	v_lshrrev_b32_e32 v152, 4, v162
	s_delay_alu instid0(VALU_DEP_3) | instskip(NEXT) | instid1(VALU_DEP_2)
	v_and_or_b32 v153, v153, 15, 0x4b000000
	v_and_or_b32 v152, v152, 15, 0x4b000000
	s_delay_alu instid0(VALU_DEP_2) | instskip(SKIP_1) | instid1(VALU_DEP_1)
	v_add_f32_e32 v236, 0xcb000008, v153
	v_and_or_b32 v153, v160, 15, 0x4b000000
	v_add_f32_e32 v238, 0xcb000008, v153
	v_lshrrev_b32_e32 v153, 8, v162
	s_delay_alu instid0(VALU_DEP_1) | instskip(SKIP_2) | instid1(VALU_DEP_1)
	v_and_or_b32 v153, v153, 15, 0x4b000000
	v_add_f32_e32 v230, 0xcb000008, v156
	v_and_or_b32 v156, v157, 15, 0x4b000000
	v_dual_add_f32 v241, 0xcb000008, v153 :: v_dual_add_f32 v234, 0xcb000008, v156
	v_and_or_b32 v156, v162, 15, 0x4b000000
	s_delay_alu instid0(VALU_DEP_1)
	v_add_f32_e32 v239, 0xcb000008, v156
	s_waitcnt vmcnt(1)
	ds_load_b128 v[58:61], v0
	v_mov_b32_e32 v79, v0
	scratch_load_b32 v0, off, off offset:144 ; 4-byte Folded Reload
	s_waitcnt vmcnt(1)
	ds_load_b128 v[21:24], v101
	s_waitcnt vmcnt(0)
	ds_load_b128 v[13:16], v0 offset:4096
	v_mov_b32_e32 v78, v0
	scratch_load_b32 v0, off, off offset:140 ; 4-byte Folded Reload
	s_waitcnt lgkmcnt(3)
	v_lshrrev_b32_e32 v163, 4, v9
	v_lshrrev_b32_e32 v164, 8, v9
	v_lshrrev_b32_e32 v165, 12, v9
	v_and_or_b32 v166, v9, 15, 0x4b000000
	v_ashrrev_i32_e32 v167, 16, v9
	v_lshrrev_b32_e32 v168, 4, v10
	v_lshrrev_b32_e32 v169, 8, v10
	v_lshrrev_b32_e32 v170, 12, v10
	v_and_or_b32 v171, v10, 15, 0x4b000000
	v_ashrrev_i32_e32 v172, 16, v10
	;; [unrolled: 5-line block ×4, first 2 shown]
	ds_load_b128 v[62:65], v53
	v_and_or_b32 v153, v164, 15, 0x4b000000
	v_and_or_b32 v156, v167, 15, 0x4b000000
	v_add_f32_e32 v240, 0xcb000008, v152
	v_and_or_b32 v152, v163, 15, 0x4b000000
	v_add_f32_e32 v160, 0xcb000008, v155
	v_lshrrev_b32_e32 v155, 12, v162
	v_add_f32_e32 v164, 0xcb000008, v166
	v_add_f32_e32 v242, 0xcb000008, v156
	v_and_or_b32 v156, v172, 15, 0x4b000000
	v_add_f32_e32 v166, 0xcb000008, v153
	v_lshrrev_b32_e32 v153, 8, v167
	v_add_f32_e32 v162, 0xcb000008, v154
	v_and_or_b32 v154, v155, 15, 0x4b000000
	v_lshrrev_b32_e32 v155, 12, v167
	v_add_f32_e32 v245, 0xcb000008, v156
	v_and_or_b32 v153, v153, 15, 0x4b000000
	v_and_or_b32 v156, v177, 15, 0x4b000000
	v_add_f32_e32 v163, 0xcb000008, v154
	v_and_or_b32 v154, v165, 15, 0x4b000000
	v_add_f32_e32 v165, 0xcb000008, v152
	v_lshrrev_b32_e32 v152, 4, v167
	v_add_f32_e32 v244, 0xcb000008, v153
	v_and_or_b32 v153, v169, 15, 0x4b000000
	v_add_f32_e32 v169, 0xcb000008, v171
	v_add_f32_e32 v167, 0xcb000008, v154
	v_and_or_b32 v152, v152, 15, 0x4b000000
	v_and_or_b32 v154, v155, 15, 0x4b000000
	v_add_f32_e32 v171, 0xcb000008, v153
	v_lshrrev_b32_e32 v153, 8, v172
	v_lshrrev_b32_e32 v155, 12, v172
	v_add_f32_e32 v243, 0xcb000008, v152
	v_and_or_b32 v152, v168, 15, 0x4b000000
	v_add_f32_e32 v168, 0xcb000008, v154
	v_and_or_b32 v153, v153, 15, 0x4b000000
	v_and_or_b32 v154, v170, 15, 0x4b000000
	v_add_f32_e32 v248, 0xcb000008, v156
	v_add_f32_e32 v170, 0xcb000008, v152
	v_lshrrev_b32_e32 v152, 4, v172
	v_add_f32_e32 v247, 0xcb000008, v153
	v_and_or_b32 v153, v174, 15, 0x4b000000
	v_add_f32_e32 v174, 0xcb000008, v176
	v_and_or_b32 v156, v182, 15, 0x4b000000
	v_and_or_b32 v152, v152, 15, 0x4b000000
	v_add_f32_e32 v172, 0xcb000008, v154
	v_add_f32_e32 v176, 0xcb000008, v153
	v_lshrrev_b32_e32 v153, 8, v177
	v_add_f32_e32 v251, 0xcb000008, v156
	v_and_or_b32 v154, v155, 15, 0x4b000000
	v_add_f32_e32 v246, 0xcb000008, v152
	v_and_or_b32 v152, v173, 15, 0x4b000000
	v_and_or_b32 v153, v153, 15, 0x4b000000
	v_lshrrev_b32_e32 v155, 12, v177
	v_add_f32_e32 v173, 0xcb000008, v154
	v_and_or_b32 v154, v175, 15, 0x4b000000
	v_add_f32_e32 v175, 0xcb000008, v152
	v_lshrrev_b32_e32 v152, 4, v177
	v_add_f32_e32 v250, 0xcb000008, v153
	v_and_or_b32 v153, v179, 15, 0x4b000000
	v_add_f32_e32 v179, 0xcb000008, v181
	s_waitcnt lgkmcnt(1)
	v_lshrrev_b32_e32 v184, 8, v13
	v_and_or_b32 v152, v152, 15, 0x4b000000
	v_add_f32_e32 v177, 0xcb000008, v154
	v_add_f32_e32 v181, 0xcb000008, v153
	v_lshrrev_b32_e32 v153, 8, v182
	v_and_or_b32 v154, v155, 15, 0x4b000000
	v_add_f32_e32 v249, 0xcb000008, v152
	v_and_or_b32 v152, v178, 15, 0x4b000000
	v_and_or_b32 v186, v13, 15, 0x4b000000
	v_and_or_b32 v153, v153, 15, 0x4b000000
	v_ashrrev_i32_e32 v187, 16, v13
	v_add_f32_e32 v178, 0xcb000008, v154
	v_and_or_b32 v154, v180, 15, 0x4b000000
	v_add_f32_e32 v180, 0xcb000008, v152
	v_lshrrev_b32_e32 v152, 4, v182
	v_add_f32_e32 v253, 0xcb000008, v153
	v_and_or_b32 v153, v184, 15, 0x4b000000
	v_lshrrev_b32_e32 v183, 4, v13
	v_and_or_b32 v191, v14, 15, 0x4b000000
	v_lshrrev_b32_e32 v155, 12, v182
	v_and_or_b32 v152, v152, 15, 0x4b000000
	v_add_f32_e32 v184, 0xcb000008, v186
	v_add_f32_e32 v186, 0xcb000008, v153
	v_lshrrev_b32_e32 v153, 8, v187
	v_lshrrev_b32_e32 v185, 12, v13
	v_add_f32_e32 v182, 0xcb000008, v154
	v_and_or_b32 v154, v155, 15, 0x4b000000
	v_lshrrev_b32_e32 v188, 4, v14
	v_and_or_b32 v153, v153, 15, 0x4b000000
	v_add_f32_e32 v252, 0xcb000008, v152
	v_and_or_b32 v152, v183, 15, 0x4b000000
	v_add_f32_e32 v183, 0xcb000008, v154
	;; [unrolled: 2-line block ×3, first 2 shown]
	v_lshrrev_b32_e32 v155, 12, v187
	v_add_f32_e32 v185, 0xcb000008, v152
	v_lshrrev_b32_e32 v152, 4, v187
	v_lshrrev_b32_e32 v190, 12, v14
	v_ashrrev_i32_e32 v192, 16, v14
	v_and_or_b32 v156, v187, 15, 0x4b000000
	v_add_f32_e32 v187, 0xcb000008, v154
	v_and_or_b32 v152, v152, 15, 0x4b000000
	v_and_or_b32 v154, v155, 15, 0x4b000000
	v_lshrrev_b32_e32 v189, 8, v14
	v_lshrrev_b32_e32 v193, 4, v15
	;; [unrolled: 1-line block ×3, first 2 shown]
	v_add_f32_e32 v255, 0xcb000008, v152
	v_and_or_b32 v152, v188, 15, 0x4b000000
	v_add_f32_e32 v188, 0xcb000008, v154
	v_and_or_b32 v154, v190, 15, 0x4b000000
	v_and_or_b32 v153, v189, 15, 0x4b000000
	v_lshrrev_b32_e32 v195, 12, v15
	v_add_f32_e32 v190, 0xcb000008, v152
	v_lshrrev_b32_e32 v152, 4, v192
	v_ashrrev_i32_e32 v197, 16, v15
	v_dual_add_f32 v254, 0xcb000008, v156 :: v_dual_add_f32 v189, 0xcb000008, v191
	v_add_f32_e32 v191, 0xcb000008, v153
	s_delay_alu instid0(VALU_DEP_4)
	v_and_or_b32 v152, v152, 15, 0x4b000000
	v_lshrrev_b32_e32 v153, 8, v192
	v_and_or_b32 v156, v192, 15, 0x4b000000
	v_add_f32_e32 v192, 0xcb000008, v154
	v_and_or_b32 v154, v155, 15, 0x4b000000
	v_add_f32_e32 v93, 0xcb000008, v152
	v_and_or_b32 v152, v193, 15, 0x4b000000
	v_lshrrev_b32_e32 v194, 8, v15
	v_lshrrev_b32_e32 v198, 4, v16
	v_add_f32_e32 v193, 0xcb000008, v154
	v_and_or_b32 v154, v195, 15, 0x4b000000
	v_add_f32_e32 v195, 0xcb000008, v152
	v_lshrrev_b32_e32 v152, 4, v197
	v_ashrrev_i32_e32 v202, 16, v16
	v_and_or_b32 v153, v153, 15, 0x4b000000
	v_add_f32_e32 v96, 0xcb000008, v156
	v_and_or_b32 v156, v197, 15, 0x4b000000
	v_and_or_b32 v152, v152, 15, 0x4b000000
	;; [unrolled: 1-line block ×3, first 2 shown]
	v_lshrrev_b32_e32 v199, 8, v16
	v_lshrrev_b32_e32 v200, 12, v16
	v_and_or_b32 v201, v16, 15, 0x4b000000
	v_add_f32_e32 v121, 0xcb000008, v152
	v_and_or_b32 v152, v198, 15, 0x4b000000
	v_lshrrev_b32_e32 v155, 12, v197
	s_delay_alu instid0(VALU_DEP_1)
	v_and_or_b32 v155, v155, 15, 0x4b000000
	s_waitcnt vmcnt(0)
	ds_load_b128 v[9:12], v0 offset:4096
	v_mov_b32_e32 v54, v0
	scratch_load_b32 v0, off, off offset:160 ; 4-byte Folded Reload
	s_waitcnt lgkmcnt(0)
	v_lshrrev_b32_e32 v203, 4, v9
	v_lshrrev_b32_e32 v204, 8, v9
	v_lshrrev_b32_e32 v205, 12, v9
	v_and_or_b32 v206, v9, 15, 0x4b000000
	v_ashrrev_i32_e32 v207, 16, v9
	v_lshrrev_b32_e32 v208, 4, v10
	v_lshrrev_b32_e32 v209, 8, v10
	v_lshrrev_b32_e32 v210, 12, v10
	v_and_or_b32 v211, v10, 15, 0x4b000000
	v_ashrrev_i32_e32 v212, 16, v10
	;; [unrolled: 5-line block ×4, first 2 shown]
	s_waitcnt vmcnt(0)
	ds_load_b128 v[132:135], v0
	v_mov_b32_e32 v112, v0
	scratch_load_b32 v0, off, off offset:164 ; 4-byte Folded Reload
	s_waitcnt vmcnt(0)
	ds_load_b128 v[136:139], v0
	v_mov_b32_e32 v113, v0
	scratch_load_b32 v0, off, off offset:168 ; 4-byte Folded Reload
	;; [unrolled: 4-line block ×8, first 2 shown]
	s_waitcnt vmcnt(0)
	ds_load_b128 v[13:16], v0
	v_dual_mov_b32 v47, v0 :: v_dual_add_f32 v0, 0xcb000008, v156
	v_and_or_b32 v156, v202, 15, 0x4b000000
	v_add_f32_e32 v120, 0xcb000008, v153
	v_and_or_b32 v153, v194, 15, 0x4b000000
	v_add_f32_e32 v194, 0xcb000008, v196
	s_delay_alu instid0(VALU_DEP_4) | instskip(SKIP_1) | instid1(VALU_DEP_4)
	v_add_f32_e32 v123, 0xcb000008, v156
	v_and_or_b32 v156, v207, 15, 0x4b000000
	v_add_f32_e32 v196, 0xcb000008, v153
	v_lshrrev_b32_e32 v153, 8, v197
	v_add_f32_e32 v197, 0xcb000008, v154
	v_and_or_b32 v154, v200, 15, 0x4b000000
	v_add_f32_e32 v200, 0xcb000008, v152
	v_lshrrev_b32_e32 v152, 4, v202
	v_and_or_b32 v153, v153, 15, 0x4b000000
	v_add_f32_e32 v97, 0xcb000008, v156
	v_and_or_b32 v156, v212, 15, 0x4b000000
	s_delay_alu instid0(VALU_DEP_4) | instskip(NEXT) | instid1(VALU_DEP_2)
	v_and_or_b32 v152, v152, 15, 0x4b000000
	v_add_f32_e32 v100, 0xcb000008, v156
	v_and_or_b32 v156, v217, 15, 0x4b000000
	s_delay_alu instid0(VALU_DEP_3)
	v_add_f32_e32 v94, 0xcb000008, v152
	v_and_or_b32 v152, v203, 15, 0x4b000000
	v_add_f32_e32 v122, 0xcb000008, v153
	v_and_or_b32 v153, v199, 15, 0x4b000000
	v_dual_add_f32 v199, 0xcb000008, v201 :: v_dual_add_f32 v104, 0xcb000008, v156
	v_and_or_b32 v156, v222, 15, 0x4b000000
	s_delay_alu instid0(VALU_DEP_3) | instskip(SKIP_1) | instid1(VALU_DEP_3)
	v_add_f32_e32 v201, 0xcb000008, v153
	v_lshrrev_b32_e32 v153, 8, v202
	v_add_f32_e32 v107, 0xcb000008, v156
	s_delay_alu instid0(VALU_DEP_2) | instskip(SKIP_2) | instid1(VALU_DEP_3)
	v_and_or_b32 v153, v153, 15, 0x4b000000
	v_add_f32_e32 v198, 0xcb000008, v155
	v_lshrrev_b32_e32 v155, 12, v202
	v_dual_add_f32 v202, 0xcb000008, v154 :: v_dual_add_f32 v119, 0xcb000008, v153
	v_and_or_b32 v153, v204, 15, 0x4b000000
	s_delay_alu instid0(VALU_DEP_3) | instskip(SKIP_2) | instid1(VALU_DEP_4)
	v_and_or_b32 v154, v155, 15, 0x4b000000
	v_add_f32_e32 v204, 0xcb000008, v206
	v_lshrrev_b32_e32 v155, 12, v207
	v_add_f32_e32 v206, 0xcb000008, v153
	v_lshrrev_b32_e32 v153, 8, v207
	v_add_f32_e32 v203, 0xcb000008, v154
	v_and_or_b32 v154, v205, 15, 0x4b000000
	v_add_f32_e32 v205, 0xcb000008, v152
	v_lshrrev_b32_e32 v152, 4, v207
	v_and_or_b32 v153, v153, 15, 0x4b000000
	s_delay_alu instid0(VALU_DEP_4) | instskip(SKIP_1) | instid1(VALU_DEP_4)
	v_add_f32_e32 v207, 0xcb000008, v154
	v_and_or_b32 v154, v155, 15, 0x4b000000
	v_and_or_b32 v152, v152, 15, 0x4b000000
	s_delay_alu instid0(VALU_DEP_4)
	v_add_f32_e32 v99, 0xcb000008, v153
	v_and_or_b32 v153, v209, 15, 0x4b000000
	v_add_f32_e32 v209, 0xcb000008, v211
	v_lshrrev_b32_e32 v155, 12, v212
	v_add_f32_e32 v98, 0xcb000008, v152
	v_and_or_b32 v152, v208, 15, 0x4b000000
	v_add_f32_e32 v211, 0xcb000008, v153
	v_lshrrev_b32_e32 v153, 8, v212
	s_delay_alu instid0(VALU_DEP_1)
	v_and_or_b32 v153, v153, 15, 0x4b000000
	v_add_f32_e32 v208, 0xcb000008, v154
	v_and_or_b32 v154, v210, 15, 0x4b000000
	v_add_f32_e32 v210, 0xcb000008, v152
	v_lshrrev_b32_e32 v152, 4, v212
	v_add_f32_e32 v103, 0xcb000008, v153
	v_and_or_b32 v153, v214, 15, 0x4b000000
	v_add_f32_e32 v214, 0xcb000008, v216
	s_delay_alu instid0(VALU_DEP_4) | instskip(NEXT) | instid1(VALU_DEP_3)
	v_and_or_b32 v152, v152, 15, 0x4b000000
	v_add_f32_e32 v216, 0xcb000008, v153
	v_lshrrev_b32_e32 v153, 8, v217
	s_delay_alu instid0(VALU_DEP_1) | instskip(NEXT) | instid1(VALU_DEP_1)
	v_and_or_b32 v153, v153, 15, 0x4b000000
	v_add_f32_e32 v106, 0xcb000008, v153
	v_and_or_b32 v153, v219, 15, 0x4b000000
	v_add_f32_e32 v102, 0xcb000008, v152
	;; [unrolled: 2-line block ×3, first 2 shown]
	v_and_or_b32 v154, v155, 15, 0x4b000000
	v_lshrrev_b32_e32 v155, 12, v217
	v_add_f32_e32 v219, 0xcb000008, v221
	v_add_f32_e32 v221, 0xcb000008, v153
	v_lshrrev_b32_e32 v153, 8, v222
	v_add_f32_e32 v213, 0xcb000008, v154
	v_and_or_b32 v154, v215, 15, 0x4b000000
	v_add_f32_e32 v215, 0xcb000008, v152
	v_lshrrev_b32_e32 v152, 4, v217
	v_and_or_b32 v153, v153, 15, 0x4b000000
	s_delay_alu instid0(VALU_DEP_4) | instskip(SKIP_1) | instid1(VALU_DEP_4)
	v_add_f32_e32 v217, 0xcb000008, v154
	v_and_or_b32 v154, v155, 15, 0x4b000000
	v_and_or_b32 v152, v152, 15, 0x4b000000
	v_lshrrev_b32_e32 v155, 12, v222
	v_add_f32_e32 v109, 0xcb000008, v153
	s_delay_alu instid0(VALU_DEP_3) | instskip(SKIP_4) | instid1(VALU_DEP_4)
	v_add_f32_e32 v105, 0xcb000008, v152
	v_and_or_b32 v152, v218, 15, 0x4b000000
	v_add_f32_e32 v218, 0xcb000008, v154
	v_and_or_b32 v154, v220, 15, 0x4b000000
	v_and_or_b32 v155, v155, 15, 0x4b000000
	v_add_f32_e32 v220, 0xcb000008, v152
	v_lshrrev_b32_e32 v152, 4, v222
	s_delay_alu instid0(VALU_DEP_4) | instskip(NEXT) | instid1(VALU_DEP_4)
	v_add_f32_e32 v222, 0xcb000008, v154
	v_add_f32_e32 v110, 0xcb000008, v155
	s_delay_alu instid0(VALU_DEP_3) | instskip(NEXT) | instid1(VALU_DEP_1)
	v_and_or_b32 v152, v152, 15, 0x4b000000
	v_add_f32_e32 v108, 0xcb000008, v152
	; sched_barrier mask(0x00000000)
	s_waitcnt lgkmcnt(0)
	s_barrier
	; sched_barrier mask(0x00000000)
	v_perm_b32 v152, v69, v66, 0x7060302
	v_perm_b32 v153, v67, v68, 0x7060302
	;; [unrolled: 1-line block ×8, first 2 shown]
	s_delay_alu instid0(VALU_DEP_1)
	v_wmma_f32_16x16x16_bf16 v[1:8], v[58:65], v[152:159], v[1:8]
	v_perm_b32 v63, v238, v162, 0x7060302
	v_perm_b32 v62, v161, v237, 0x7060302
	;; [unrolled: 1-line block ×8, first 2 shown]
	s_delay_alu instid0(VALU_DEP_1)
	v_wmma_f32_16x16x16_bf16 v[1:8], v[128:135], v[58:65], v[1:8]
	; sched_barrier mask(0x00000000)
	s_setprio 1
	; sched_barrier mask(0x00000000)
	v_perm_b32 v58, v164, v165, 0x7060302
	v_perm_b32 v59, v166, v167, 0x7060302
	;; [unrolled: 1-line block ×16, first 2 shown]
	v_wmma_f32_16x16x16_bf16 v[1:8], v[136:143], v[58:65], v[1:8]
	v_perm_b32 v58, v184, v185, 0x7060302
	v_perm_b32 v59, v186, v187, 0x7060302
	;; [unrolled: 1-line block ×4, first 2 shown]
	v_wmma_f32_16x16x16_bf16 v[1:8], v[144:151], v[128:135], v[1:8]
	v_perm_b32 v62, v189, v190, 0x7060302
	v_perm_b32 v63, v191, v192, 0x7060302
	;; [unrolled: 1-line block ×12, first 2 shown]
	v_wmma_f32_16x16x16_bf16 v[1:8], v[33:40], v[58:65], v[1:8]
	v_perm_b32 v38, v221, v222, 0x7060302
	v_perm_b32 v37, v219, v220, 0x7060302
	;; [unrolled: 1-line block ×4, first 2 shown]
	v_wmma_f32_16x16x16_bf16 v[1:8], v[25:32], v[128:135], v[1:8]
	v_perm_b32 v25, v204, v205, 0x7060302
	v_perm_b32 v26, v206, v207, 0x7060302
	;; [unrolled: 1-line block ×12, first 2 shown]
	; sched_barrier mask(0x00000000)
	s_waitcnt lgkmcnt(0)
	s_barrier
	; sched_barrier mask(0x00000000)
	v_wmma_f32_16x16x16_bf16 v[1:8], v[17:24], v[25:32], v[1:8]
	s_delay_alu instid0(VALU_DEP_1)
	v_wmma_f32_16x16x16_bf16 v[1:8], v[9:16], v[33:40], v[1:8]
	; sched_barrier mask(0x00000000)
	s_setprio 0
	; sched_barrier mask(0x00000000)
	s_clause 0x3
	scratch_load_b32 v10, off, off offset:228
	scratch_load_b32 v19, off, off offset:132
	scratch_load_b32 v12, off, off offset:216
	scratch_load_b32 v9, off, off offset:220
	v_dual_mov_b32 v55, v79 :: v_dual_lshlrev_b32 v0, 1, v57
	v_lshrrev_b32_e32 v11, 31, v89
	v_mov_b32_e32 v56, v80
	v_add_nc_u32_e64 v65, 4, s24
	ds_store_b128 v0, v[85:88]
	v_ashrrev_i32_e32 v0, 31, v118
	v_add_nc_u32_e32 v11, v89, v11
	v_dual_mov_b32 v35, v53 :: v_dual_mov_b32 v70, v78
	v_mov_b32_e32 v67, v46
	s_delay_alu instid0(VALU_DEP_4) | instskip(NEXT) | instid1(VALU_DEP_4)
	v_lshrrev_b32_e32 v0, 28, v0
	v_ashrrev_i32_e32 v11, 1, v11
	v_mov_b32_e32 v63, v112
	v_mov_b32_e32 v61, v52
	;; [unrolled: 1-line block ×3, first 2 shown]
	v_add_nc_u32_e32 v0, v118, v0
	v_dual_mov_b32 v60, v51 :: v_dual_mov_b32 v59, v50
	v_dual_mov_b32 v58, v49 :: v_dual_mov_b32 v51, v43
	s_delay_alu instid0(VALU_DEP_3) | instskip(SKIP_3) | instid1(VALU_DEP_4)
	v_and_b32_e32 v0, -16, v0
	v_mov_b32_e32 v62, v111
	v_mov_b32_e32 v64, v113
	;; [unrolled: 1-line block ×3, first 2 shown]
	v_sub_nc_u32_e32 v0, v118, v0
	s_waitcnt vmcnt(3)
	v_add_nc_u32_e32 v10, v127, v10
	s_waitcnt vmcnt(1)
	v_add_nc_u32_e32 v71, v12, v125
	v_add_nc_u32_e32 v90, v12, v124
	s_delay_alu instid0(VALU_DEP_3) | instskip(NEXT) | instid1(VALU_DEP_1)
	v_lshrrev_b32_e32 v12, 31, v10
	v_add_nc_u32_e32 v12, v10, v12
	s_delay_alu instid0(VALU_DEP_1) | instskip(SKIP_2) | instid1(VALU_DEP_1)
	v_ashrrev_i32_e32 v69, 1, v12
	scratch_load_b128 v[12:15], off, off    ; 16-byte Folded Reload
	v_xor_b32_e32 v36, v0, v19
	v_sub_nc_u32_e32 v0, v36, v126
	s_delay_alu instid0(VALU_DEP_1) | instskip(SKIP_1) | instid1(VALU_DEP_1)
	v_lshlrev_b32_e32 v0, 3, v0
	s_waitcnt vmcnt(1)
	v_add3_u32 v9, v57, v9, v0
	v_lshrrev_b32_e32 v0, 31, v127
	s_delay_alu instid0(VALU_DEP_2) | instskip(NEXT) | instid1(VALU_DEP_2)
	v_dual_mov_b32 v57, v54 :: v_dual_lshlrev_b32 v48, 1, v9
	v_add_nc_u32_e32 v0, v127, v0
	ds_store_b128 v48, v[81:84]
	v_ashrrev_i32_e32 v0, 1, v0
	ds_store_b128 v0, v[73:76] offset:4096
	v_add_nc_u32_e32 v0, 0x80, v89
	s_waitcnt vmcnt(0)
	ds_store_b128 v69, v[12:15] offset:4096
	v_lshrrev_b32_e32 v12, 31, v0
	v_add_nc_u32_e32 v13, 0xfffffe00, v71
	s_delay_alu instid0(VALU_DEP_2)
	v_add_nc_u32_e32 v0, v0, v12
	buffer_load_b128 v[12:15], v13, s[0:3], 0 offen
	v_ashrrev_i32_e32 v0, 1, v0
	s_waitcnt vmcnt(0)
	scratch_store_b128 off, v[12:15], off offset:36 ; 16-byte Folded Spill
	buffer_load_b128 v[11:14], v11, s[12:15], 0 offen
	s_waitcnt vmcnt(0)
	scratch_store_b128 off, v[11:14], off offset:20 ; 16-byte Folded Spill
	buffer_load_b128 v[11:14], v0, s[12:15], 0 offen
	s_waitcnt vmcnt(0)
	scratch_store_b128 off, v[11:14], off offset:52 ; 16-byte Folded Spill
	buffer_load_b128 v[11:14], v90, s[0:3], 0 offen offset:768
	s_waitcnt vmcnt(0)
	scratch_store_b128 off, v[11:14], off offset:68 ; 16-byte Folded Spill
	s_waitcnt lgkmcnt(0)
	s_waitcnt_vscnt null, 0x0
	s_barrier
	ds_load_b128 v[11:14], v80 offset:4096
	ds_load_b128 v[73:76], v79
	s_waitcnt lgkmcnt(1)
	v_and_or_b32 v0, v11, 15, 0x4b000000
	v_lshrrev_b32_e32 v38, 4, v11
	v_lshrrev_b32_e32 v39, 8, v11
	v_lshrrev_b32_e32 v40, 12, v11
	v_ashrrev_i32_e32 v91, 16, v11
	v_and_or_b32 v93, v12, 15, 0x4b000000
	v_lshrrev_b32_e32 v94, 4, v12
	v_lshrrev_b32_e32 v95, 8, v12
	v_lshrrev_b32_e32 v96, 12, v12
	v_ashrrev_i32_e32 v97, 16, v12
	;; [unrolled: 5-line block ×4, first 2 shown]
	ds_load_b128 v[11:14], v117 offset:4096
	ds_load_b128 v[15:18], v78 offset:4096
	v_and_or_b32 v40, v40, 15, 0x4b000000
	v_lshrrev_b32_e32 v208, 8, v91
	v_and_or_b32 v209, v97, 15, 0x4b000000
	v_lshrrev_b32_e32 v210, 4, v97
	v_lshrrev_b32_e32 v211, 8, v97
	v_lshrrev_b32_e32 v97, 12, v97
	v_and_or_b32 v100, v100, 15, 0x4b000000
	v_and_or_b32 v212, v103, 15, 0x4b000000
	v_lshrrev_b32_e32 v213, 4, v103
	v_lshrrev_b32_e32 v214, 8, v103
	;; [unrolled: 1-line block ×3, first 2 shown]
	v_and_or_b32 v215, v108, 15, 0x4b000000
	v_lshrrev_b32_e32 v216, 4, v108
	v_lshrrev_b32_e32 v217, 8, v108
	;; [unrolled: 1-line block ×3, first 2 shown]
	v_and_or_b32 v38, v38, 15, 0x4b000000
	v_and_or_b32 v39, v39, 15, 0x4b000000
	;; [unrolled: 1-line block ×3, first 2 shown]
	s_waitcnt lgkmcnt(1)
	v_and_or_b32 v109, v11, 15, 0x4b000000
	v_lshrrev_b32_e32 v110, 4, v11
	v_lshrrev_b32_e32 v119, 8, v11
	v_lshrrev_b32_e32 v120, 12, v11
	v_ashrrev_i32_e32 v121, 16, v11
	v_add_f32_e32 v109, 0xcb000008, v109
	v_and_or_b32 v122, v12, 15, 0x4b000000
	v_lshrrev_b32_e32 v123, 4, v12
	v_lshrrev_b32_e32 v155, 8, v12
	v_lshrrev_b32_e32 v156, 12, v12
	v_ashrrev_i32_e32 v157, 16, v12
	v_and_or_b32 v158, v13, 15, 0x4b000000
	v_lshrrev_b32_e32 v159, 4, v13
	v_lshrrev_b32_e32 v160, 8, v13
	v_lshrrev_b32_e32 v161, 12, v13
	v_ashrrev_i32_e32 v162, 16, v13
	;; [unrolled: 5-line block ×3, first 2 shown]
	ds_load_b128 v[77:80], v53
	ds_load_b128 v[11:14], v54 offset:4096
	s_waitcnt lgkmcnt(2)
	v_and_or_b32 v173, v16, 15, 0x4b000000
	v_add_f32_e32 v163, 0xcb000008, v163
	v_and_or_b32 v178, v17, 15, 0x4b000000
	v_lshrrev_b32_e32 v179, 4, v17
	v_lshrrev_b32_e32 v180, 8, v17
	v_add_f32_e32 v173, 0xcb000008, v173
	v_lshrrev_b32_e32 v181, 12, v17
	v_ashrrev_i32_e32 v182, 16, v17
	v_and_or_b32 v183, v18, 15, 0x4b000000
	v_lshrrev_b32_e32 v184, 4, v18
	v_lshrrev_b32_e32 v185, 8, v18
	;; [unrolled: 1-line block ×3, first 2 shown]
	v_ashrrev_i32_e32 v187, 16, v18
	ds_load_b128 v[81:84], v111
	ds_load_b128 v[85:88], v112
	;; [unrolled: 1-line block ×6, first 2 shown]
	s_waitcnt lgkmcnt(6)
	v_and_or_b32 v188, v11, 15, 0x4b000000
	v_lshrrev_b32_e32 v189, 4, v11
	v_lshrrev_b32_e32 v190, 8, v11
	v_lshrrev_b32_e32 v191, 12, v11
	v_ashrrev_i32_e32 v192, 16, v11
	v_sub_nc_u32_e32 v11, v65, v92
	v_and_or_b32 v193, v12, 15, 0x4b000000
	v_lshrrev_b32_e32 v194, 4, v12
	v_lshrrev_b32_e32 v195, 8, v12
	;; [unrolled: 1-line block ×3, first 2 shown]
	v_mad_u64_u32 v[33:34], null, v11, s8, v[89:90]
	v_add_nc_u32_e32 v11, -1, v118
	v_ashrrev_i32_e32 v197, 16, v12
	v_and_or_b32 v168, v15, 15, 0x4b000000
	v_lshrrev_b32_e32 v169, 4, v15
	v_lshrrev_b32_e32 v170, 8, v15
	v_ashrrev_i32_e32 v12, 31, v11
	v_lshrrev_b32_e32 v171, 12, v15
	v_ashrrev_i32_e32 v172, 16, v15
	v_lshrrev_b32_e32 v174, 4, v16
	v_lshrrev_b32_e32 v175, 8, v16
	;; [unrolled: 1-line block ×4, first 2 shown]
	v_ashrrev_i32_e32 v177, 16, v16
	v_and_or_b32 v198, v13, 15, 0x4b000000
	v_lshrrev_b32_e32 v199, 4, v13
	v_add_nc_u32_e32 v12, v11, v12
	v_lshrrev_b32_e32 v200, 8, v13
	v_lshrrev_b32_e32 v201, 12, v13
	v_ashrrev_i32_e32 v202, 16, v13
	v_and_or_b32 v203, v14, 15, 0x4b000000
	v_and_b32_e32 v12, -16, v12
	v_lshrrev_b32_e32 v204, 4, v14
	v_lshrrev_b32_e32 v205, 8, v14
	;; [unrolled: 1-line block ×3, first 2 shown]
	v_ashrrev_i32_e32 v207, 16, v14
	v_sub_nc_u32_e32 v11, v11, v12
	scratch_load_b32 v12, off, off offset:232 ; 4-byte Folded Reload
	ds_load_b128 v[147:150], v41
	ds_load_b128 v[151:154], v42
	;; [unrolled: 1-line block ×4, first 2 shown]
	v_xor_b32_e32 v126, v11, v19
	v_lshrrev_b32_e32 v92, 4, v91
	v_and_or_b32 v89, v91, 15, 0x4b000000
	v_lshrrev_b32_e32 v91, 12, v91
	v_and_or_b32 v110, v110, 15, 0x4b000000
	v_and_or_b32 v218, v121, 15, 0x4b000000
	v_lshrrev_b32_e32 v219, 4, v121
	v_lshrrev_b32_e32 v220, 8, v121
	;; [unrolled: 1-line block ×3, first 2 shown]
	v_and_or_b32 v123, v123, 15, 0x4b000000
	v_and_or_b32 v155, v155, 15, 0x4b000000
	;; [unrolled: 1-line block ×4, first 2 shown]
	v_lshrrev_b32_e32 v222, 4, v157
	v_lshrrev_b32_e32 v223, 8, v157
	;; [unrolled: 1-line block ×3, first 2 shown]
	v_and_or_b32 v159, v159, 15, 0x4b000000
	v_and_or_b32 v160, v160, 15, 0x4b000000
	;; [unrolled: 1-line block ×3, first 2 shown]
	v_dual_add_f32 v224, 0xcb000008, v158 :: v_dual_add_f32 v123, 0xcb000008, v123
	v_and_or_b32 v158, v162, 15, 0x4b000000
	v_lshrrev_b32_e32 v225, 4, v162
	v_lshrrev_b32_e32 v226, 8, v162
	v_lshrrev_b32_e32 v162, 12, v162
	v_and_or_b32 v227, v167, 15, 0x4b000000
	v_lshrrev_b32_e32 v228, 4, v167
	v_lshrrev_b32_e32 v229, 8, v167
	v_lshrrev_b32_e32 v167, 12, v167
	;; [unrolled: 4-line block ×10, first 2 shown]
	v_and_or_b32 v92, v92, 15, 0x4b000000
	v_and_or_b32 v95, v95, 15, 0x4b000000
	v_mov_b32_e32 v50, v44
	v_and_or_b32 v96, v96, 15, 0x4b000000
	v_and_or_b32 v99, v99, 15, 0x4b000000
	;; [unrolled: 1-line block ×3, first 2 shown]
	v_add_f32_e32 v95, 0xcb000008, v95
	v_and_or_b32 v105, v105, 15, 0x4b000000
	v_and_or_b32 v106, v106, 15, 0x4b000000
	;; [unrolled: 1-line block ×17, first 2 shown]
	v_dual_add_f32 v178, 0xcb000008, v178 :: v_dual_add_f32 v255, 0xcb000008, v156
	v_and_or_b32 v184, v184, 15, 0x4b000000
	v_and_or_b32 v185, v185, 15, 0x4b000000
	;; [unrolled: 1-line block ×6, first 2 shown]
	v_dual_add_f32 v188, 0xcb000008, v188 :: v_dual_add_f32 v111, 0xcb000008, v161
	v_and_or_b32 v194, v194, 15, 0x4b000000
	v_and_or_b32 v195, v195, 15, 0x4b000000
	;; [unrolled: 1-line block ×6, first 2 shown]
	v_add_f32_e32 v198, 0xcb000008, v198
	v_and_or_b32 v204, v204, 15, 0x4b000000
	v_and_or_b32 v205, v205, 15, 0x4b000000
	v_and_or_b32 v206, v206, 15, 0x4b000000
	v_add_f32_e32 v40, 0xcb000008, v40
	v_and_or_b32 v208, v208, 15, 0x4b000000
	v_and_or_b32 v91, v91, 15, 0x4b000000
	v_add_f32_e32 v89, 0xcb000008, v89
	v_and_or_b32 v210, v210, 15, 0x4b000000
	v_and_or_b32 v211, v211, 15, 0x4b000000
	;; [unrolled: 1-line block ×3, first 2 shown]
	v_add_f32_e32 v100, 0xcb000008, v100
	v_and_or_b32 v213, v213, 15, 0x4b000000
	v_and_or_b32 v214, v214, 15, 0x4b000000
	;; [unrolled: 1-line block ×6, first 2 shown]
	v_add_f32_e32 v110, 0xcb000008, v110
	v_and_or_b32 v219, v219, 15, 0x4b000000
	v_and_or_b32 v220, v220, 15, 0x4b000000
	;; [unrolled: 1-line block ×3, first 2 shown]
	v_add_f32_e32 v254, 0xcb000008, v155
	v_and_or_b32 v155, v222, 15, 0x4b000000
	v_and_or_b32 v156, v223, 15, 0x4b000000
	;; [unrolled: 1-line block ×3, first 2 shown]
	v_dual_add_f32 v222, 0xcb000008, v159 :: v_dual_add_f32 v201, 0xcb000008, v201
	v_add_f32_e32 v223, 0xcb000008, v160
	v_and_or_b32 v159, v225, 15, 0x4b000000
	v_and_or_b32 v160, v226, 15, 0x4b000000
	v_and_or_b32 v161, v162, 15, 0x4b000000
	v_add_f32_e32 v225, 0xcb000008, v158
	v_and_or_b32 v158, v228, 15, 0x4b000000
	v_and_or_b32 v162, v229, 15, 0x4b000000
	v_and_or_b32 v167, v167, 15, 0x4b000000
	;; [unrolled: 4-line block ×4, first 2 shown]
	v_dual_add_f32 v232, 0xcb000008, v233 :: v_dual_add_f32 v211, 0xcb000008, v211
	v_and_or_b32 v233, v237, 15, 0x4b000000
	v_and_or_b32 v234, v238, 15, 0x4b000000
	v_and_or_b32 v182, v182, 15, 0x4b000000
	v_add_f32_e32 v235, 0xcb000008, v236
	v_and_or_b32 v236, v240, 15, 0x4b000000
	v_and_or_b32 v237, v241, 15, 0x4b000000
	v_and_or_b32 v187, v187, 15, 0x4b000000
	v_dual_add_f32 v238, 0xcb000008, v239 :: v_dual_add_f32 v217, 0xcb000008, v217
	v_and_or_b32 v239, v243, 15, 0x4b000000
	v_and_or_b32 v240, v244, 15, 0x4b000000
	v_and_or_b32 v192, v192, 15, 0x4b000000
	v_add_f32_e32 v241, 0xcb000008, v242
	v_and_or_b32 v242, v246, 15, 0x4b000000
	v_and_or_b32 v243, v247, 15, 0x4b000000
	v_and_or_b32 v197, v197, 15, 0x4b000000
	;; [unrolled: 8-line block ×3, first 2 shown]
	v_dual_add_f32 v92, 0xcb000008, v92 :: v_dual_add_f32 v227, 0xcb000008, v227
	v_dual_mov_b32 v128, v114 :: v_dual_add_f32 v193, 0xcb000008, v193
	v_dual_mov_b32 v34, v116 :: v_dual_add_f32 v203, 0xcb000008, v203
	;; [unrolled: 1-line block ×4, first 2 shown]
	v_dual_add_f32 v0, 0xcb000008, v0 :: v_dual_add_f32 v105, 0xcb000008, v105
	v_dual_add_f32 v93, 0xcb000008, v93 :: v_dual_add_f32 v98, 0xcb000008, v98
	;; [unrolled: 1-line block ×6, first 2 shown]
	v_add_f32_e32 v165, 0xcb000008, v165
	v_dual_add_f32 v39, 0xcb000008, v39 :: v_dual_add_f32 v94, 0xcb000008, v94
	v_dual_add_f32 v169, 0xcb000008, v169 :: v_dual_add_f32 v96, 0xcb000008, v96
	;; [unrolled: 1-line block ×30, first 2 shown]
	v_add_f32_e32 v245, 0xcb000008, v245
	v_dual_add_f32 v114, 0xcb000008, v161 :: v_dual_add_f32 v207, 0xcb000008, v207
	v_dual_add_f32 v116, 0xcb000008, v162 :: v_dual_add_f32 v249, 0xcb000008, v249
	v_add_f32_e32 v228, 0xcb000008, v228
	v_add_f32_e32 v172, 0xcb000008, v172
	;; [unrolled: 1-line block ×10, first 2 shown]
	v_dual_add_f32 v202, 0xcb000008, v202 :: v_dual_add_f32 v183, 0xcb000008, v183
	v_add_f32_e32 v248, 0xcb000008, v248
	s_waitcnt vmcnt(0)
	v_add_nc_u32_e32 v127, v10, v12
	v_sub_nc_u32_e32 v10, v126, v36
	s_delay_alu instid0(VALU_DEP_1) | instskip(NEXT) | instid1(VALU_DEP_1)
	v_lshl_add_u32 v129, v10, 3, 0xffffff80
	v_add_nc_u32_e32 v72, v129, v9
	ds_load_b128 v[17:20], v45
	ds_load_b128 v[21:24], v101
	;; [unrolled: 1-line block ×4, first 2 shown]
	; sched_barrier mask(0x00000000)
	s_waitcnt lgkmcnt(0)
	s_barrier
	; sched_barrier mask(0x00000000)
	v_perm_b32 v155, v0, v38, 0x7060302
	v_perm_b32 v156, v39, v40, 0x7060302
	;; [unrolled: 1-line block ×8, first 2 shown]
	s_delay_alu instid0(VALU_DEP_1)
	v_wmma_f32_16x16x16_bf16 v[1:8], v[73:80], v[155:162], v[1:8]
	v_perm_b32 v78, v106, v107, 0x7060302
	v_perm_b32 v77, v104, v105, 0x7060302
	v_perm_b32 v74, v100, v102, 0x7060302
	v_perm_b32 v73, v98, v99, 0x7060302
	v_perm_b32 v79, v215, v216, 0x7060302
	v_perm_b32 v76, v214, v103, 0x7060302
	v_perm_b32 v75, v212, v213, 0x7060302
	v_perm_b32 v80, v217, v108, 0x7060302
	s_delay_alu instid0(VALU_DEP_1)
	v_wmma_f32_16x16x16_bf16 v[1:8], v[81:88], v[73:80], v[1:8]
	; sched_barrier mask(0x00000000)
	s_setprio 1
	; sched_barrier mask(0x00000000)
	v_perm_b32 v73, v109, v110, 0x7060302
	v_perm_b32 v74, v119, v120, 0x7060302
	;; [unrolled: 1-line block ×16, first 2 shown]
	v_wmma_f32_16x16x16_bf16 v[1:8], v[131:138], v[73:80], v[1:8]
	v_perm_b32 v73, v168, v169, 0x7060302
	v_perm_b32 v74, v170, v171, 0x7060302
	v_perm_b32 v75, v229, v227, 0x7060302
	v_perm_b32 v76, v228, v172, 0x7060302
	v_wmma_f32_16x16x16_bf16 v[1:8], v[139:146], v[81:88], v[1:8]
	v_perm_b32 v77, v173, v174, 0x7060302
	v_perm_b32 v78, v175, v176, 0x7060302
	v_perm_b32 v79, v232, v230, 0x7060302
	v_perm_b32 v80, v231, v177, 0x7060302
	v_perm_b32 v86, v185, v186, 0x7060302
	v_perm_b32 v85, v183, v184, 0x7060302
	v_perm_b32 v82, v180, v181, 0x7060302
	v_perm_b32 v81, v178, v179, 0x7060302
	v_perm_b32 v87, v238, v236, 0x7060302
	v_perm_b32 v84, v234, v182, 0x7060302
	v_perm_b32 v83, v235, v233, 0x7060302
	v_perm_b32 v88, v237, v187, 0x7060302
	v_wmma_f32_16x16x16_bf16 v[1:8], v[147:154], v[73:80], v[1:8]
	v_perm_b32 v77, v203, v204, 0x7060302
	v_perm_b32 v74, v200, v201, 0x7060302
	;; [unrolled: 1-line block ×4, first 2 shown]
	v_wmma_f32_16x16x16_bf16 v[1:8], v[25:32], v[81:88], v[1:8]
	v_perm_b32 v75, v247, v245, 0x7060302
	v_perm_b32 v25, v188, v189, 0x7060302
	;; [unrolled: 1-line block ×12, first 2 shown]
	; sched_barrier mask(0x00000000)
	s_waitcnt lgkmcnt(0)
	s_barrier
	; sched_barrier mask(0x00000000)
	v_wmma_f32_16x16x16_bf16 v[1:8], v[17:24], v[25:32], v[1:8]
	s_delay_alu instid0(VALU_DEP_1) | instskip(SKIP_4) | instid1(VALU_DEP_2)
	v_wmma_f32_16x16x16_bf16 v[1:8], v[9:16], v[73:80], v[1:8]
	; sched_barrier mask(0x00000000)
	s_setprio 0
	; sched_barrier mask(0x00000000)
	scratch_load_b128 v[9:12], off, off offset:116 ; 16-byte Folded Reload
	v_lshlrev_b32_e32 v89, 1, v129
	v_add_nc_u32_e64 v134, 5, s24
	v_add_nc_u32_e32 v0, v48, v89
	s_waitcnt vmcnt(0)
	ds_store_b128 v0, v[9:12]
	v_sub_nc_u32_e32 v9, v36, v126
	s_delay_alu instid0(VALU_DEP_1) | instskip(SKIP_2) | instid1(VALU_DEP_1)
	v_lshlrev_b32_e32 v77, 3, v9
	scratch_load_b128 v[9:12], off, off offset:100 ; 16-byte Folded Reload
	v_add_nc_u32_e32 v49, 0x80, v77
	v_lshlrev_b32_e32 v78, 1, v49
	v_add3_u32 v73, v72, v49, v129
	s_delay_alu instid0(VALU_DEP_2) | instskip(SKIP_1) | instid1(VALU_DEP_1)
	v_add_nc_u32_e32 v79, v0, v78
	v_lshrrev_b32_e32 v0, 31, v127
	v_add_nc_u32_e32 v0, v127, v0
	s_delay_alu instid0(VALU_DEP_1)
	v_ashrrev_i32_e32 v132, 1, v0
	v_add_nc_u32_e32 v0, 0x80, v33
	s_waitcnt vmcnt(0)
	ds_store_b128 v79, v[9:12]
	scratch_load_b128 v[11:14], off, off offset:84 ; 16-byte Folded Reload
	v_lshrrev_b32_e32 v9, 31, v33
	v_lshrrev_b32_e32 v10, 31, v0
	ds_store_b128 v132, v[58:61] offset:4096
	v_add_nc_u32_e32 v9, v33, v9
	v_add_nc_u32_e32 v0, v0, v10
	;; [unrolled: 1-line block ×3, first 2 shown]
	s_delay_alu instid0(VALU_DEP_3) | instskip(NEXT) | instid1(VALU_DEP_3)
	v_ashrrev_i32_e32 v9, 1, v9
	v_ashrrev_i32_e32 v0, 1, v0
	s_waitcnt vmcnt(0)
	ds_store_b128 v69, v[11:14] offset:4096
	s_clause 0x1
	buffer_load_b128 v[58:61], v9, s[12:15], 0 offen
	buffer_load_b128 v[11:14], v0, s[12:15], 0 offen
	s_waitcnt vmcnt(0)
	scratch_store_b128 off, v[11:14], off   ; 16-byte Folded Spill
	s_clause 0x1
	buffer_load_b128 v[81:84], v10, s[0:3], 0 offen
	buffer_load_b128 v[85:88], v90, s[0:3], 0 offen offset:1024
	s_waitcnt vmcnt(0) lgkmcnt(0)
	s_waitcnt_vscnt null, 0x0
	s_barrier
	ds_load_b128 v[9:12], v56 offset:4096
	ds_load_b128 v[135:138], v55
	s_waitcnt lgkmcnt(1)
	v_lshrrev_b32_e32 v0, 4, v9
	v_lshrrev_b32_e32 v42, 8, v9
	v_lshrrev_b32_e32 v43, 12, v9
	v_and_or_b32 v44, v9, 15, 0x4b000000
	v_ashrrev_i32_e32 v45, 16, v9
	v_lshrrev_b32_e32 v46, 4, v10
	v_lshrrev_b32_e32 v47, 8, v10
	v_lshrrev_b32_e32 v48, 12, v10
	v_and_or_b32 v52, v10, 15, 0x4b000000
	v_ashrrev_i32_e32 v53, 16, v10
	;; [unrolled: 5-line block ×3, first 2 shown]
	v_lshrrev_b32_e32 v95, 4, v12
	v_and_or_b32 v96, v12, 15, 0x4b000000
	v_lshrrev_b32_e32 v97, 8, v12
	v_lshrrev_b32_e32 v98, 12, v12
	v_ashrrev_i32_e32 v99, 16, v12
	ds_load_b128 v[9:12], v117 offset:4096
	ds_load_b128 v[13:16], v70 offset:4096
	v_lshrrev_b32_e32 v206, 12, v45
	v_lshrrev_b32_e32 v208, 8, v53
	v_and_or_b32 v42, v42, 15, 0x4b000000
	v_and_or_b32 v43, v43, 15, 0x4b000000
	v_lshrrev_b32_e32 v205, 8, v45
	v_and_or_b32 v206, v206, 15, 0x4b000000
	v_and_or_b32 v46, v46, 15, 0x4b000000
	;; [unrolled: 1-line block ×4, first 2 shown]
	v_lshrrev_b32_e32 v207, 4, v53
	v_lshrrev_b32_e32 v209, 12, v53
	v_and_or_b32 v53, v53, 15, 0x4b000000
	v_and_or_b32 v208, v208, 15, 0x4b000000
	;; [unrolled: 1-line block ×5, first 2 shown]
	v_lshrrev_b32_e32 v210, 4, v94
	v_lshrrev_b32_e32 v211, 8, v94
	s_waitcnt lgkmcnt(1)
	v_ashrrev_i32_e32 v122, 16, v12
	s_waitcnt lgkmcnt(0)
	v_lshrrev_b32_e32 v167, 12, v13
	v_ashrrev_i32_e32 v169, 16, v13
	v_and_or_b32 v168, v13, 15, 0x4b000000
	v_lshrrev_b32_e32 v170, 4, v14
	v_lshrrev_b32_e32 v225, 4, v122
	;; [unrolled: 1-line block ×4, first 2 shown]
	v_and_or_b32 v122, v122, 15, 0x4b000000
	v_and_or_b32 v167, v167, 15, 0x4b000000
	v_lshrrev_b32_e32 v230, 12, v169
	v_lshrrev_b32_e32 v172, 12, v14
	;; [unrolled: 1-line block ×3, first 2 shown]
	s_delay_alu instid0(VALU_DEP_4) | instskip(NEXT) | instid1(VALU_DEP_4)
	v_dual_add_f32 v122, 0xcb000008, v122 :: v_dual_add_f32 v231, 0xcb000008, v167
	v_and_or_b32 v167, v230, 15, 0x4b000000
	v_add_f32_e32 v228, 0xcb000008, v168
	v_lshrrev_b32_e32 v168, 4, v169
	v_ashrrev_i32_e32 v174, 16, v14
	v_lshrrev_b32_e32 v229, 8, v169
	v_add_f32_e32 v233, 0xcb000008, v167
	v_and_or_b32 v169, v169, 15, 0x4b000000
	v_and_or_b32 v168, v168, 15, 0x4b000000
	;; [unrolled: 1-line block ×4, first 2 shown]
	v_lshrrev_b32_e32 v175, 4, v15
	v_lshrrev_b32_e32 v176, 8, v15
	s_delay_alu instid0(VALU_DEP_4)
	v_dual_add_f32 v232, 0xcb000008, v168 :: v_dual_add_f32 v237, 0xcb000008, v167
	v_and_or_b32 v168, v170, 15, 0x4b000000
	v_add_f32_e32 v230, 0xcb000008, v169
	v_and_or_b32 v169, v171, 15, 0x4b000000
	v_lshrrev_b32_e32 v170, 12, v174
	v_lshrrev_b32_e32 v177, 12, v15
	v_add_f32_e32 v235, 0xcb000008, v168
	v_lshrrev_b32_e32 v168, 4, v174
	v_ashrrev_i32_e32 v179, 16, v15
	v_and_or_b32 v167, v170, 15, 0x4b000000
	v_add_f32_e32 v236, 0xcb000008, v169
	v_lshrrev_b32_e32 v169, 8, v174
	v_and_or_b32 v168, v168, 15, 0x4b000000
	v_add_f32_e32 v234, 0xcb000008, v173
	v_and_or_b32 v171, v174, 15, 0x4b000000
	v_lshrrev_b32_e32 v100, 4, v9
	v_and_or_b32 v169, v169, 15, 0x4b000000
	v_add_f32_e32 v239, 0xcb000008, v168
	v_and_or_b32 v168, v175, 15, 0x4b000000
	v_lshrrev_b32_e32 v102, 8, v9
	v_lshrrev_b32_e32 v103, 12, v9
	v_and_or_b32 v104, v9, 15, 0x4b000000
	v_ashrrev_i32_e32 v105, 16, v9
	v_lshrrev_b32_e32 v106, 4, v10
	v_lshrrev_b32_e32 v107, 8, v10
	v_lshrrev_b32_e32 v108, 12, v10
	v_and_or_b32 v109, v10, 15, 0x4b000000
	v_ashrrev_i32_e32 v110, 16, v10
	v_lshrrev_b32_e32 v111, 4, v11
	;; [unrolled: 5-line block ×3, first 2 shown]
	v_lshrrev_b32_e32 v119, 8, v12
	v_lshrrev_b32_e32 v120, 12, v12
	v_and_or_b32 v121, v12, 15, 0x4b000000
	v_and_or_b32 v178, v15, 15, 0x4b000000
	ds_load_b128 v[139:142], v35
	ds_load_b128 v[9:12], v57 offset:4096
	v_add_f32_e32 v238, 0xcb000008, v171
	v_add_f32_e32 v175, 0xcb000008, v167
	v_and_or_b32 v167, v177, 15, 0x4b000000
	v_dual_add_f32 v177, 0xcb000008, v168 :: v_dual_add_f32 v240, 0xcb000008, v169
	v_and_or_b32 v169, v176, 15, 0x4b000000
	v_lshrrev_b32_e32 v168, 4, v179
	v_lshrrev_b32_e32 v180, 4, v16
	;; [unrolled: 1-line block ×3, first 2 shown]
	v_and_or_b32 v183, v16, 15, 0x4b000000
	v_lshrrev_b32_e32 v170, 12, v179
	v_and_or_b32 v171, v179, 15, 0x4b000000
	v_add_f32_e32 v176, 0xcb000008, v178
	v_add_f32_e32 v178, 0xcb000008, v169
	v_lshrrev_b32_e32 v169, 8, v179
	v_and_or_b32 v168, v168, 15, 0x4b000000
	v_lshrrev_b32_e32 v182, 12, v16
	v_ashrrev_i32_e32 v184, 16, v16
	v_and_or_b32 v170, v170, 15, 0x4b000000
	v_and_or_b32 v169, v169, 15, 0x4b000000
	v_dual_add_f32 v179, 0xcb000008, v167 :: v_dual_add_f32 v242, 0xcb000008, v168
	v_and_or_b32 v167, v180, 15, 0x4b000000
	v_and_or_b32 v168, v181, 15, 0x4b000000
	s_delay_alu instid0(VALU_DEP_4) | instskip(SKIP_2) | instid1(VALU_DEP_4)
	v_dual_add_f32 v243, 0xcb000008, v169 :: v_dual_add_f32 v180, 0xcb000008, v170
	v_and_or_b32 v169, v182, 15, 0x4b000000
	v_add_f32_e32 v181, 0xcb000008, v183
	v_dual_add_f32 v183, 0xcb000008, v168 :: v_dual_add_f32 v182, 0xcb000008, v167
	v_lshrrev_b32_e32 v167, 4, v184
	v_lshrrev_b32_e32 v168, 8, v184
	s_waitcnt lgkmcnt(0)
	v_lshrrev_b32_e32 v185, 4, v9
	v_lshrrev_b32_e32 v186, 8, v9
	;; [unrolled: 1-line block ×3, first 2 shown]
	v_and_or_b32 v167, v167, 15, 0x4b000000
	v_and_or_b32 v168, v168, 15, 0x4b000000
	v_lshrrev_b32_e32 v187, 12, v9
	v_and_or_b32 v188, v9, 15, 0x4b000000
	v_ashrrev_i32_e32 v189, 16, v9
	v_add_f32_e32 v241, 0xcb000008, v171
	v_and_or_b32 v171, v184, 15, 0x4b000000
	v_dual_add_f32 v184, 0xcb000008, v169 :: v_dual_add_f32 v245, 0xcb000008, v167
	v_and_or_b32 v169, v170, 15, 0x4b000000
	v_and_or_b32 v167, v185, 15, 0x4b000000
	v_add_f32_e32 v246, 0xcb000008, v168
	v_and_or_b32 v168, v186, 15, 0x4b000000
	v_and_or_b32 v193, v10, 15, 0x4b000000
	v_add_f32_e32 v185, 0xcb000008, v169
	v_and_or_b32 v169, v187, 15, 0x4b000000
	v_add_f32_e32 v187, 0xcb000008, v167
	v_add_f32_e32 v244, 0xcb000008, v171
	v_lshrrev_b32_e32 v167, 4, v189
	v_and_or_b32 v171, v189, 15, 0x4b000000
	v_add_f32_e32 v186, 0xcb000008, v188
	v_add_f32_e32 v188, 0xcb000008, v168
	v_lshrrev_b32_e32 v168, 8, v189
	v_lshrrev_b32_e32 v190, 4, v10
	;; [unrolled: 1-line block ×4, first 2 shown]
	v_and_or_b32 v167, v167, 15, 0x4b000000
	v_and_or_b32 v168, v168, 15, 0x4b000000
	v_lshrrev_b32_e32 v192, 12, v10
	v_ashrrev_i32_e32 v194, 16, v10
	v_add_f32_e32 v189, 0xcb000008, v169
	v_and_or_b32 v169, v170, 15, 0x4b000000
	v_dual_add_f32 v248, 0xcb000008, v167 :: v_dual_add_f32 v249, 0xcb000008, v168
	v_and_or_b32 v167, v190, 15, 0x4b000000
	v_and_or_b32 v168, v191, 15, 0x4b000000
	s_delay_alu instid0(VALU_DEP_4) | instskip(SKIP_1) | instid1(VALU_DEP_4)
	v_add_f32_e32 v190, 0xcb000008, v169
	v_and_or_b32 v169, v192, 15, 0x4b000000
	v_dual_add_f32 v191, 0xcb000008, v193 :: v_dual_add_f32 v192, 0xcb000008, v167
	s_delay_alu instid0(VALU_DEP_4)
	v_add_f32_e32 v193, 0xcb000008, v168
	v_lshrrev_b32_e32 v167, 4, v194
	v_lshrrev_b32_e32 v168, 8, v194
	;; [unrolled: 1-line block ×4, first 2 shown]
	v_sub_nc_u32_e32 v9, v134, v65
	v_lshrrev_b32_e32 v170, 12, v194
	v_and_or_b32 v167, v167, 15, 0x4b000000
	v_and_or_b32 v168, v168, 15, 0x4b000000
	v_lshrrev_b32_e32 v197, 12, v11
	v_and_or_b32 v198, v11, 15, 0x4b000000
	v_ashrrev_i32_e32 v199, 16, v11
	v_mad_u64_u32 v[91:92], null, v9, s8, v[33:34]
	ds_load_b128 v[143:146], v62
	ds_load_b128 v[147:150], v63
	ds_load_b128 v[151:154], v64
	ds_load_b128 v[155:158], v128
	ds_load_b128 v[159:162], v130
	ds_load_b128 v[163:166], v34
	ds_load_b128 v[33:36], v41
	ds_load_b128 v[37:40], v37
	ds_load_b128 v[25:28], v50
	ds_load_b128 v[29:32], v51
	ds_load_b128 v[17:20], v66
	ds_load_b128 v[21:24], v101
	v_add_f32_e32 v247, 0xcb000008, v171
	v_and_or_b32 v171, v194, 15, 0x4b000000
	v_dual_add_f32 v194, 0xcb000008, v169 :: v_dual_add_f32 v251, 0xcb000008, v167
	v_and_or_b32 v169, v170, 15, 0x4b000000
	v_and_or_b32 v167, v195, 15, 0x4b000000
	v_add_f32_e32 v252, 0xcb000008, v168
	v_and_or_b32 v168, v196, 15, 0x4b000000
	v_and_or_b32 v203, v12, 15, 0x4b000000
	v_add_f32_e32 v195, 0xcb000008, v169
	v_and_or_b32 v169, v197, 15, 0x4b000000
	v_add_f32_e32 v197, 0xcb000008, v167
	v_add_f32_e32 v250, 0xcb000008, v171
	v_lshrrev_b32_e32 v167, 4, v199
	v_and_or_b32 v171, v199, 15, 0x4b000000
	v_add_f32_e32 v196, 0xcb000008, v198
	v_add_f32_e32 v198, 0xcb000008, v168
	v_lshrrev_b32_e32 v168, 8, v199
	v_lshrrev_b32_e32 v123, 4, v13
	;; [unrolled: 1-line block ×6, first 2 shown]
	v_ashrrev_i32_e32 v204, 16, v12
	ds_load_b128 v[9:12], v67
	ds_load_b128 v[13:16], v68
	v_lshrrev_b32_e32 v170, 12, v199
	v_and_or_b32 v167, v167, 15, 0x4b000000
	v_and_or_b32 v168, v168, 15, 0x4b000000
	v_lshrrev_b32_e32 v92, 4, v45
	v_add_f32_e32 v199, 0xcb000008, v169
	v_and_or_b32 v169, v170, 15, 0x4b000000
	s_delay_alu instid0(VALU_DEP_4)
	v_dual_add_f32 v254, 0xcb000008, v167 :: v_dual_add_f32 v255, 0xcb000008, v168
	v_and_or_b32 v167, v200, 15, 0x4b000000
	v_and_or_b32 v168, v201, 15, 0x4b000000
	;; [unrolled: 1-line block ×4, first 2 shown]
	v_lshrrev_b32_e32 v212, 12, v94
	v_lshrrev_b32_e32 v213, 4, v99
	;; [unrolled: 1-line block ×13, first 2 shown]
	v_and_or_b32 v120, v120, 15, 0x4b000000
	v_and_or_b32 v133, v133, 15, 0x4b000000
	v_add_f32_e32 v200, 0xcb000008, v169
	v_and_or_b32 v169, v202, 15, 0x4b000000
	v_add_f32_e32 v201, 0xcb000008, v203
	v_dual_add_f32 v203, 0xcb000008, v168 :: v_dual_add_f32 v202, 0xcb000008, v167
	v_lshrrev_b32_e32 v167, 4, v204
	v_lshrrev_b32_e32 v168, 8, v204
	;; [unrolled: 1-line block ×3, first 2 shown]
	v_and_or_b32 v0, v0, 15, 0x4b000000
	v_add_f32_e32 v44, 0xcb000008, v44
	v_add_f32_e32 v42, 0xcb000008, v42
	v_and_or_b32 v205, v205, 15, 0x4b000000
	v_add_f32_e32 v43, 0xcb000008, v43
	v_dual_add_f32 v45, 0xcb000008, v45 :: v_dual_add_f32 v92, 0xcb000008, v92
	v_dual_add_f32 v206, 0xcb000008, v206 :: v_dual_add_f32 v53, 0xcb000008, v53
	v_add_f32_e32 v47, 0xcb000008, v47
	v_and_or_b32 v207, v207, 15, 0x4b000000
	v_add_f32_e32 v52, 0xcb000008, v52
	v_dual_add_f32 v48, 0xcb000008, v48 :: v_dual_add_f32 v93, 0xcb000008, v93
	v_and_or_b32 v209, v209, 15, 0x4b000000
	v_add_f32_e32 v46, 0xcb000008, v46
	v_dual_add_f32 v208, 0xcb000008, v208 :: v_dual_add_f32 v55, 0xcb000008, v55
	v_and_or_b32 v94, v94, 15, 0x4b000000
	v_and_or_b32 v210, v210, 15, 0x4b000000
	;; [unrolled: 1-line block ×3, first 2 shown]
	v_add_f32_e32 v54, 0xcb000008, v54
	v_and_or_b32 v212, v212, 15, 0x4b000000
	v_and_or_b32 v95, v95, 15, 0x4b000000
	v_add_f32_e32 v56, 0xcb000008, v56
	v_and_or_b32 v97, v97, 15, 0x4b000000
	v_and_or_b32 v98, v98, 15, 0x4b000000
	;; [unrolled: 1-line block ×3, first 2 shown]
	v_add_f32_e32 v95, 0xcb000008, v95
	v_and_or_b32 v213, v213, 15, 0x4b000000
	v_and_or_b32 v214, v214, 15, 0x4b000000
	;; [unrolled: 1-line block ×28, first 2 shown]
	v_dual_add_f32 v120, 0xcb000008, v120 :: v_dual_add_f32 v133, 0xcb000008, v133
	v_and_or_b32 v227, v227, 15, 0x4b000000
	v_and_or_b32 v123, v123, 15, 0x4b000000
	;; [unrolled: 1-line block ×3, first 2 shown]
	v_add_f32_e32 v253, 0xcb000008, v171
	v_and_or_b32 v171, v204, 15, 0x4b000000
	v_and_or_b32 v167, v167, 15, 0x4b000000
	;; [unrolled: 1-line block ×4, first 2 shown]
	v_dual_add_f32 v0, 0xcb000008, v0 :: v_dual_add_f32 v205, 0xcb000008, v205
	v_add_f32_e32 v207, 0xcb000008, v207
	v_dual_add_f32 v209, 0xcb000008, v209 :: v_dual_add_f32 v94, 0xcb000008, v94
	v_dual_add_f32 v97, 0xcb000008, v97 :: v_dual_add_f32 v210, 0xcb000008, v210
	v_add_f32_e32 v99, 0xcb000008, v99
	v_dual_add_f32 v211, 0xcb000008, v211 :: v_dual_add_f32 v212, 0xcb000008, v212
	v_dual_add_f32 v213, 0xcb000008, v213 :: v_dual_add_f32 v96, 0xcb000008, v96
	;; [unrolled: 1-line block ×19, first 2 shown]
	v_add_f32_e32 v229, 0xcb000008, v229
	v_dual_add_f32 v204, 0xcb000008, v169 :: v_dual_add_f32 v101, 0xcb000008, v171
	v_dual_add_f32 v131, 0xcb000008, v167 :: v_dual_add_f32 v130, 0xcb000008, v168
	v_add_f32_e32 v128, 0xcb000008, v170
	; sched_barrier mask(0x00000000)
	s_waitcnt lgkmcnt(0)
	s_barrier
	; sched_barrier mask(0x00000000)
	v_perm_b32 v167, v44, v0, 0x7060302
	v_perm_b32 v168, v42, v43, 0x7060302
	;; [unrolled: 1-line block ×8, first 2 shown]
	s_delay_alu instid0(VALU_DEP_1)
	v_wmma_f32_16x16x16_bf16 v[1:8], v[135:142], v[167:174], v[1:8]
	v_perm_b32 v140, v97, v98, 0x7060302
	v_perm_b32 v139, v96, v95, 0x7060302
	;; [unrolled: 1-line block ×8, first 2 shown]
	s_delay_alu instid0(VALU_DEP_1)
	v_wmma_f32_16x16x16_bf16 v[1:8], v[143:150], v[135:142], v[1:8]
	; sched_barrier mask(0x00000000)
	s_setprio 1
	; sched_barrier mask(0x00000000)
	v_perm_b32 v135, v104, v100, 0x7060302
	v_perm_b32 v136, v102, v103, 0x7060302
	;; [unrolled: 1-line block ×16, first 2 shown]
	v_wmma_f32_16x16x16_bf16 v[1:8], v[151:158], v[135:142], v[1:8]
	v_perm_b32 v135, v228, v123, 0x7060302
	v_perm_b32 v136, v133, v231, 0x7060302
	;; [unrolled: 1-line block ×4, first 2 shown]
	v_wmma_f32_16x16x16_bf16 v[1:8], v[159:166], v[143:150], v[1:8]
	v_perm_b32 v139, v234, v235, 0x7060302
	v_perm_b32 v140, v236, v237, 0x7060302
	;; [unrolled: 1-line block ×12, first 2 shown]
	v_wmma_f32_16x16x16_bf16 v[1:8], v[33:40], v[135:142], v[1:8]
	v_perm_b32 v38, v203, v204, 0x7060302
	v_perm_b32 v37, v201, v202, 0x7060302
	;; [unrolled: 1-line block ×4, first 2 shown]
	v_wmma_f32_16x16x16_bf16 v[1:8], v[25:32], v[143:150], v[1:8]
	v_perm_b32 v25, v186, v187, 0x7060302
	v_perm_b32 v26, v188, v189, 0x7060302
	;; [unrolled: 1-line block ×12, first 2 shown]
	; sched_barrier mask(0x00000000)
	s_waitcnt lgkmcnt(0)
	s_barrier
	; sched_barrier mask(0x00000000)
	v_wmma_f32_16x16x16_bf16 v[1:8], v[17:24], v[25:32], v[1:8]
	s_delay_alu instid0(VALU_DEP_1)
	v_wmma_f32_16x16x16_bf16 v[1:8], v[9:16], v[33:40], v[1:8]
	; sched_barrier mask(0x00000000)
	s_setprio 0
	; sched_barrier mask(0x00000000)
	scratch_load_b128 v[9:12], off, off offset:68 ; 16-byte Folded Reload
	v_add_nc_u32_e32 v0, v79, v89
	v_add3_u32 v57, v73, v49, v129
	v_dual_mov_b32 v76, v61 :: v_dual_mov_b32 v73, v58
	v_mov_b32_e32 v75, v60
	s_delay_alu instid0(VALU_DEP_4)
	v_dual_mov_b32 v74, v59 :: v_dual_add_nc_u32 v133, v0, v78
	scratch_load_b32 v70, off, off offset:16 ; 4-byte Folded Reload
	v_add_nc_u32_e32 v125, 0x300, v125
	v_add_nc_u32_e32 v124, 0x300, v124
	s_waitcnt vmcnt(1)
	ds_store_b128 v0, v[9:12]
	scratch_load_b128 v[9:12], off, off offset:36 ; 16-byte Folded Reload
	v_lshrrev_b32_e32 v0, 31, v91
	s_delay_alu instid0(VALU_DEP_1) | instskip(NEXT) | instid1(VALU_DEP_1)
	v_add_nc_u32_e32 v0, v91, v0
	v_ashrrev_i32_e32 v0, 1, v0
	s_waitcnt vmcnt(0)
	ds_store_b128 v133, v[9:12]
	scratch_load_b128 v[9:12], off, off offset:20 ; 16-byte Folded Reload
	v_add_nc_u32_e32 v70, 12, v70
	s_delay_alu instid0(VALU_DEP_1)
	v_lshrrev_b32_e32 v92, 2, v70
	s_waitcnt vmcnt(0)
	ds_store_b128 v132, v[9:12] offset:4096
	scratch_load_b128 v[9:12], off, off offset:52 ; 16-byte Folded Reload
	s_waitcnt vmcnt(0)
	ds_store_b128 v69, v[9:12] offset:4096
	s_clause 0x1
	buffer_load_b128 v[45:48], v90, s[0:3], 0 offen offset:1280
	buffer_load_b128 v[41:44], v71, s[0:3], 0 offen
	buffer_load_b128 v[49:52], v0, s[12:15], 0 offen
	v_add_nc_u32_e32 v0, 0x80, v91
	s_delay_alu instid0(VALU_DEP_1) | instskip(NEXT) | instid1(VALU_DEP_1)
	v_lshrrev_b32_e32 v9, 31, v0
	v_add_nc_u32_e32 v0, v0, v9
	s_delay_alu instid0(VALU_DEP_1) | instskip(SKIP_3) | instid1(SALU_CYCLE_1)
	v_ashrrev_i32_e32 v0, 1, v0
	buffer_load_b128 v[53:56], v0, s[12:15], 0 offen
	v_add_nc_u32_e64 v0, 6, s24
	s_add_i32 s24, s24, 3
	s_cmp_lt_i32 s24, s7
	s_delay_alu instid0(VALU_DEP_1) | instskip(NEXT) | instid1(VALU_DEP_1)
	v_sub_nc_u32_e32 v0, v0, v134
	v_mad_u64_u32 v[89:90], null, v0, s8, v[91:92]
	scratch_load_b32 v0, off, off offset:224 ; 4-byte Folded Reload
	s_waitcnt vmcnt(0)
	v_add_nc_u32_e32 v118, v118, v0
	s_cbranch_scc1 .LBB10_12
; %bb.13:
	s_waitcnt lgkmcnt(0)
	s_barrier
	s_clause 0x13
	scratch_load_b32 v246, off, off offset:212
	scratch_load_b32 v245, off, off offset:208
	scratch_load_b32 v243, off, off offset:200
	scratch_load_b32 v244, off, off offset:204
	scratch_load_b32 v231, off, off offset:152
	scratch_load_b32 v232, off, off offset:156
	scratch_load_b32 v233, off, off offset:160
	scratch_load_b32 v234, off, off offset:164
	scratch_load_b32 v230, off, off offset:148
	scratch_load_b32 v229, off, off offset:144
	scratch_load_b32 v228, off, off offset:140
	scratch_load_b32 v227, off, off offset:136
	scratch_load_b32 v235, off, off offset:168
	scratch_load_b32 v236, off, off offset:172
	scratch_load_b32 v237, off, off offset:176
	scratch_load_b32 v238, off, off offset:180
	scratch_load_b32 v239, off, off offset:184
	scratch_load_b32 v240, off, off offset:188
	scratch_load_b32 v241, off, off offset:192
	scratch_load_b32 v242, off, off offset:196
	v_mov_b32_e32 v247, v69
	s_lshl_b64 s[0:1], s[22:23], 1
	s_mul_i32 s17, s17, s9
	s_mul_hi_u32 s2, s16, s9
	s_add_u32 s12, s20, s0
	s_addc_u32 s13, s21, s1
	s_add_i32 s2, s2, s17
	s_waitcnt vmcnt(19)
	ds_load_b128 v[69:72], v246 offset:4096
	s_waitcnt vmcnt(18)
	ds_load_b128 v[13:16], v245
	s_waitcnt vmcnt(17)
	ds_load_b128 v[21:24], v243
	s_waitcnt vmcnt(16)
	ds_load_b128 v[9:12], v244
	s_waitcnt vmcnt(15)
	ds_load_b128 v[65:68], v231
	s_waitcnt vmcnt(14)
	ds_load_b128 v[57:60], v232
	s_waitcnt vmcnt(13)
	ds_load_b128 v[61:64], v233
	s_waitcnt vmcnt(12)
	ds_load_b128 v[49:52], v234
	s_waitcnt vmcnt(11)
	ds_load_b128 v[142:145], v230 offset:4096
	s_waitcnt vmcnt(10)
	ds_load_b128 v[146:149], v229 offset:4096
	s_waitcnt vmcnt(7)
	ds_load_b128 v[53:56], v235
	s_waitcnt vmcnt(6)
	ds_load_b128 v[41:44], v236
	;; [unrolled: 2-line block ×8, first 2 shown]
	s_waitcnt lgkmcnt(17)
	v_lshrrev_b32_e32 v0, 4, v69
	v_lshrrev_b32_e32 v89, 8, v69
	;; [unrolled: 1-line block ×3, first 2 shown]
	v_and_or_b32 v91, v69, 15, 0x4b000000
	v_ashrrev_i32_e32 v69, 16, v69
	v_and_or_b32 v0, v0, 15, 0x4b000000
	v_and_or_b32 v92, v89, 15, 0x4b000000
	;; [unrolled: 1-line block ×3, first 2 shown]
	v_add_f32_e32 v89, 0xcb000008, v91
	v_lshrrev_b32_e32 v94, 8, v69
	v_add_f32_e32 v90, 0xcb000008, v0
	v_lshrrev_b32_e32 v0, 4, v69
	v_lshrrev_b32_e32 v95, 12, v69
	v_and_or_b32 v69, v69, 15, 0x4b000000
	v_add_f32_e32 v91, 0xcb000008, v92
	v_and_or_b32 v94, v94, 15, 0x4b000000
	v_and_or_b32 v0, v0, 15, 0x4b000000
	v_add_f32_e32 v92, 0xcb000008, v93
	v_and_or_b32 v93, v95, 15, 0x4b000000
	v_add_f32_e32 v117, 0xcb000008, v69
	v_lshrrev_b32_e32 v69, 8, v70
	v_add_f32_e32 v118, 0xcb000008, v0
	v_lshrrev_b32_e32 v0, 4, v70
	;; [unrolled: 2-line block ×3, first 2 shown]
	v_and_or_b32 v69, v69, 15, 0x4b000000
	s_waitcnt lgkmcnt(9)
	v_ashrrev_i32_e32 v101, 16, v142
	v_and_or_b32 v0, v0, 15, 0x4b000000
	v_add_f32_e32 v119, 0xcb000008, v94
	v_and_or_b32 v94, v70, 15, 0x4b000000
	v_ashrrev_i32_e32 v70, 16, v70
	v_and_or_b32 v93, v93, 15, 0x4b000000
	v_add_f32_e32 v122, 0xcb000008, v0
	v_ashrrev_i32_e32 v109, 16, v143
	v_add_f32_e32 v121, 0xcb000008, v94
	v_lshrrev_b32_e32 v0, 4, v70
	v_add_f32_e32 v124, 0xcb000008, v93
	v_lshrrev_b32_e32 v94, 8, v70
	v_lshrrev_b32_e32 v93, 12, v71
	v_ashrrev_i32_e32 v128, 16, v144
	v_and_or_b32 v0, v0, 15, 0x4b000000
	v_add_f32_e32 v123, 0xcb000008, v69
	v_lshrrev_b32_e32 v69, 12, v70
	v_and_or_b32 v70, v70, 15, 0x4b000000
	v_and_or_b32 v94, v94, 15, 0x4b000000
	v_add_f32_e32 v126, 0xcb000008, v0
	v_and_or_b32 v93, v93, 15, 0x4b000000
	v_and_or_b32 v69, v69, 15, 0x4b000000
	v_add_f32_e32 v125, 0xcb000008, v70
	v_lshrrev_b32_e32 v70, 4, v71
	s_waitcnt lgkmcnt(8)
	v_and_or_b32 v187, v149, 15, 0x4b000000
	v_add_f32_e32 v139, 0xcb000008, v93
	v_add_f32_e32 v0, 0xcb000008, v69
	v_lshrrev_b32_e32 v69, 8, v71
	v_and_or_b32 v70, v70, 15, 0x4b000000
	v_lshrrev_b32_e32 v93, 12, v72
	v_add_f32_e32 v187, 0xcb000008, v187
	s_delay_alu instid0(VALU_DEP_4) | instskip(SKIP_3) | instid1(VALU_DEP_4)
	v_and_or_b32 v69, v69, 15, 0x4b000000
	v_add_f32_e32 v127, 0xcb000008, v94
	v_and_or_b32 v94, v71, 15, 0x4b000000
	v_ashrrev_i32_e32 v71, 16, v71
	v_dual_add_f32 v135, 0xcb000008, v70 :: v_dual_add_f32 v136, 0xcb000008, v69
	v_and_or_b32 v93, v93, 15, 0x4b000000
	s_delay_alu instid0(VALU_DEP_4) | instskip(NEXT) | instid1(VALU_DEP_4)
	v_add_f32_e32 v134, 0xcb000008, v94
	v_lshrrev_b32_e32 v70, 4, v71
	v_lshrrev_b32_e32 v94, 8, v71
	v_and_or_b32 v69, v71, 15, 0x4b000000
	v_lshrrev_b32_e32 v95, 12, v71
	s_delay_alu instid0(VALU_DEP_4) | instskip(NEXT) | instid1(VALU_DEP_4)
	v_and_or_b32 v70, v70, 15, 0x4b000000
	v_and_or_b32 v71, v94, 15, 0x4b000000
	s_delay_alu instid0(VALU_DEP_4)
	v_add_f32_e32 v137, 0xcb000008, v69
	v_lshrrev_b32_e32 v69, 4, v72
	v_and_or_b32 v94, v95, 15, 0x4b000000
	v_add_f32_e32 v138, 0xcb000008, v70
	v_add_f32_e32 v140, 0xcb000008, v71
	v_and_or_b32 v70, v72, 15, 0x4b000000
	v_lshrrev_b32_e32 v71, 8, v72
	v_and_or_b32 v69, v69, 15, 0x4b000000
	v_ashrrev_i32_e32 v72, 16, v72
	s_delay_alu instid0(VALU_DEP_3) | instskip(SKIP_1) | instid1(VALU_DEP_4)
	v_and_or_b32 v71, v71, 15, 0x4b000000
	v_add_f32_e32 v141, 0xcb000008, v94
	v_dual_add_f32 v94, 0xcb000008, v70 :: v_dual_add_f32 v95, 0xcb000008, v69
	s_delay_alu instid0(VALU_DEP_4)
	v_lshrrev_b32_e32 v69, 4, v72
	v_lshrrev_b32_e32 v70, 8, v72
	v_add_f32_e32 v96, 0xcb000008, v71
	v_lshrrev_b32_e32 v71, 12, v72
	v_and_or_b32 v72, v72, 15, 0x4b000000
	v_and_or_b32 v69, v69, 15, 0x4b000000
	;; [unrolled: 1-line block ×3, first 2 shown]
	s_delay_alu instid0(VALU_DEP_4) | instskip(NEXT) | instid1(VALU_DEP_3)
	v_and_or_b32 v71, v71, 15, 0x4b000000
	v_dual_add_f32 v97, 0xcb000008, v72 :: v_dual_add_f32 v98, 0xcb000008, v69
	v_lshrrev_b32_e32 v69, 4, v142
	v_and_or_b32 v72, v142, 15, 0x4b000000
	v_add_f32_e32 v99, 0xcb000008, v70
	v_lshrrev_b32_e32 v70, 8, v142
	v_dual_add_f32 v93, 0xcb000008, v93 :: v_dual_add_f32 v100, 0xcb000008, v71
	v_and_or_b32 v69, v69, 15, 0x4b000000
	v_lshrrev_b32_e32 v71, 12, v142
	s_delay_alu instid0(VALU_DEP_4)
	v_and_or_b32 v70, v70, 15, 0x4b000000
	v_add_f32_e32 v102, 0xcb000008, v72
	v_lshrrev_b32_e32 v72, 8, v101
	v_add_f32_e32 v103, 0xcb000008, v69
	v_lshrrev_b32_e32 v69, 4, v101
	;; [unrolled: 2-line block ×3, first 2 shown]
	v_and_or_b32 v71, v71, 15, 0x4b000000
	v_and_or_b32 v101, v101, 15, 0x4b000000
	;; [unrolled: 1-line block ×5, first 2 shown]
	v_add_f32_e32 v105, 0xcb000008, v71
	v_add_f32_e32 v101, 0xcb000008, v101
	;; [unrolled: 1-line block ×3, first 2 shown]
	v_lshrrev_b32_e32 v69, 4, v143
	v_add_f32_e32 v108, 0xcb000008, v70
	v_lshrrev_b32_e32 v70, 8, v143
	v_lshrrev_b32_e32 v71, 12, v143
	v_ashrrev_i32_e32 v142, 16, v145
	v_and_or_b32 v69, v69, 15, 0x4b000000
	s_delay_alu instid0(VALU_DEP_4) | instskip(SKIP_2) | instid1(VALU_DEP_4)
	v_and_or_b32 v70, v70, 15, 0x4b000000
	v_add_f32_e32 v107, 0xcb000008, v72
	v_and_or_b32 v72, v143, 15, 0x4b000000
	v_add_f32_e32 v111, 0xcb000008, v69
	v_lshrrev_b32_e32 v69, 4, v109
	v_add_f32_e32 v112, 0xcb000008, v70
	v_lshrrev_b32_e32 v70, 12, v109
	v_add_f32_e32 v110, 0xcb000008, v72
	v_and_or_b32 v71, v71, 15, 0x4b000000
	v_lshrrev_b32_e32 v72, 8, v109
	v_and_or_b32 v109, v109, 15, 0x4b000000
	v_and_or_b32 v69, v69, 15, 0x4b000000
	;; [unrolled: 1-line block ×3, first 2 shown]
	v_add_f32_e32 v113, 0xcb000008, v71
	v_and_or_b32 v72, v72, 15, 0x4b000000
	v_add_f32_e32 v109, 0xcb000008, v109
	v_add_f32_e32 v114, 0xcb000008, v69
	;; [unrolled: 1-line block ×3, first 2 shown]
	v_lshrrev_b32_e32 v69, 4, v144
	v_lshrrev_b32_e32 v70, 8, v144
	;; [unrolled: 1-line block ×3, first 2 shown]
	s_delay_alu instid0(VALU_DEP_3) | instskip(NEXT) | instid1(VALU_DEP_3)
	v_and_or_b32 v69, v69, 15, 0x4b000000
	v_and_or_b32 v70, v70, 15, 0x4b000000
	v_add_f32_e32 v115, 0xcb000008, v72
	v_and_or_b32 v72, v144, 15, 0x4b000000
	v_and_or_b32 v71, v71, 15, 0x4b000000
	s_delay_alu instid0(VALU_DEP_4) | instskip(SKIP_1) | instid1(VALU_DEP_4)
	v_dual_add_f32 v131, 0xcb000008, v69 :: v_dual_add_f32 v150, 0xcb000008, v70
	v_lshrrev_b32_e32 v69, 4, v128
	v_add_f32_e32 v130, 0xcb000008, v72
	v_lshrrev_b32_e32 v72, 8, v128
	v_lshrrev_b32_e32 v70, 12, v128
	v_and_or_b32 v128, v128, 15, 0x4b000000
	v_and_or_b32 v69, v69, 15, 0x4b000000
	v_add_f32_e32 v151, 0xcb000008, v71
	v_and_or_b32 v72, v72, 15, 0x4b000000
	v_and_or_b32 v70, v70, 15, 0x4b000000
	v_add_f32_e32 v128, 0xcb000008, v128
	v_add_f32_e32 v152, 0xcb000008, v69
	v_lshrrev_b32_e32 v69, 4, v145
	v_add_f32_e32 v153, 0xcb000008, v72
	v_and_or_b32 v72, v145, 15, 0x4b000000
	v_add_f32_e32 v154, 0xcb000008, v70
	v_lshrrev_b32_e32 v70, 8, v145
	v_and_or_b32 v69, v69, 15, 0x4b000000
	v_lshrrev_b32_e32 v71, 12, v145
	v_add_f32_e32 v155, 0xcb000008, v72
	v_lshrrev_b32_e32 v72, 8, v142
	v_and_or_b32 v70, v70, 15, 0x4b000000
	v_add_f32_e32 v156, 0xcb000008, v69
	v_lshrrev_b32_e32 v69, 4, v142
	v_and_or_b32 v71, v71, 15, 0x4b000000
	v_and_or_b32 v72, v72, 15, 0x4b000000
	v_add_f32_e32 v157, 0xcb000008, v70
	v_lshrrev_b32_e32 v70, 12, v142
	v_and_or_b32 v69, v69, 15, 0x4b000000
	v_and_or_b32 v142, v142, 15, 0x4b000000
	v_dual_add_f32 v158, 0xcb000008, v71 :: v_dual_add_f32 v161, 0xcb000008, v72
	s_delay_alu instid0(VALU_DEP_4) | instskip(NEXT) | instid1(VALU_DEP_4)
	v_and_or_b32 v70, v70, 15, 0x4b000000
	v_add_f32_e32 v160, 0xcb000008, v69
	v_lshrrev_b32_e32 v69, 4, v146
	v_add_f32_e32 v159, 0xcb000008, v142
	v_and_or_b32 v72, v146, 15, 0x4b000000
	v_add_f32_e32 v162, 0xcb000008, v70
	v_lshrrev_b32_e32 v70, 8, v146
	v_and_or_b32 v69, v69, 15, 0x4b000000
	v_ashrrev_i32_e32 v142, 16, v146
	v_add_f32_e32 v163, 0xcb000008, v72
	v_lshrrev_b32_e32 v71, 12, v146
	v_and_or_b32 v70, v70, 15, 0x4b000000
	v_add_f32_e32 v164, 0xcb000008, v69
	v_lshrrev_b32_e32 v69, 4, v142
	v_lshrrev_b32_e32 v72, 8, v142
	v_and_or_b32 v71, v71, 15, 0x4b000000
	v_add_f32_e32 v165, 0xcb000008, v70
	v_lshrrev_b32_e32 v70, 12, v142
	v_and_or_b32 v69, v69, 15, 0x4b000000
	v_and_or_b32 v142, v142, 15, 0x4b000000
	;; [unrolled: 1-line block ×3, first 2 shown]
	v_add_f32_e32 v166, 0xcb000008, v71
	v_and_or_b32 v70, v70, 15, 0x4b000000
	v_add_f32_e32 v168, 0xcb000008, v69
	v_lshrrev_b32_e32 v69, 4, v147
	v_add_f32_e32 v169, 0xcb000008, v72
	v_add_f32_e32 v167, 0xcb000008, v142
	v_and_or_b32 v72, v147, 15, 0x4b000000
	v_add_f32_e32 v170, 0xcb000008, v70
	v_lshrrev_b32_e32 v70, 8, v147
	v_and_or_b32 v69, v69, 15, 0x4b000000
	v_ashrrev_i32_e32 v142, 16, v147
	v_add_f32_e32 v171, 0xcb000008, v72
	v_lshrrev_b32_e32 v71, 12, v147
	v_and_or_b32 v70, v70, 15, 0x4b000000
	v_add_f32_e32 v172, 0xcb000008, v69
	v_lshrrev_b32_e32 v69, 4, v142
	v_lshrrev_b32_e32 v72, 8, v142
	v_and_or_b32 v71, v71, 15, 0x4b000000
	v_add_f32_e32 v173, 0xcb000008, v70
	v_lshrrev_b32_e32 v70, 12, v142
	v_and_or_b32 v69, v69, 15, 0x4b000000
	v_and_or_b32 v142, v142, 15, 0x4b000000
	;; [unrolled: 1-line block ×3, first 2 shown]
	v_add_f32_e32 v174, 0xcb000008, v71
	v_and_or_b32 v70, v70, 15, 0x4b000000
	v_add_f32_e32 v176, 0xcb000008, v69
	v_lshrrev_b32_e32 v69, 4, v148
	v_add_f32_e32 v177, 0xcb000008, v72
	v_add_f32_e32 v175, 0xcb000008, v142
	v_and_or_b32 v72, v148, 15, 0x4b000000
	v_add_f32_e32 v178, 0xcb000008, v70
	v_lshrrev_b32_e32 v70, 8, v148
	v_and_or_b32 v69, v69, 15, 0x4b000000
	v_ashrrev_i32_e32 v142, 16, v148
	v_add_f32_e32 v179, 0xcb000008, v72
	v_lshrrev_b32_e32 v71, 12, v148
	v_and_or_b32 v70, v70, 15, 0x4b000000
	v_add_f32_e32 v180, 0xcb000008, v69
	v_lshrrev_b32_e32 v69, 4, v142
	v_lshrrev_b32_e32 v72, 8, v142
	;; [unrolled: 1-line block ×3, first 2 shown]
	v_add_f32_e32 v181, 0xcb000008, v70
	v_and_or_b32 v71, v71, 15, 0x4b000000
	v_and_or_b32 v70, v142, 15, 0x4b000000
	;; [unrolled: 1-line block ×5, first 2 shown]
	v_lshrrev_b32_e32 v146, 4, v149
	v_dual_add_f32 v182, 0xcb000008, v71 :: v_dual_add_f32 v183, 0xcb000008, v70
	s_delay_alu instid0(VALU_DEP_4) | instskip(NEXT) | instid1(VALU_DEP_4)
	v_dual_add_f32 v184, 0xcb000008, v69 :: v_dual_add_f32 v185, 0xcb000008, v72
	v_add_f32_e32 v186, 0xcb000008, v142
	v_lshrrev_b32_e32 v147, 8, v149
	v_lshrrev_b32_e32 v148, 12, v149
	ds_load_b128 v[69:72], v227
	ds_load_b128 v[142:145], v228 offset:4096
	v_and_or_b32 v146, v146, 15, 0x4b000000
	v_ashrrev_i32_e32 v149, 16, v149
	v_and_or_b32 v147, v147, 15, 0x4b000000
	v_and_or_b32 v148, v148, 15, 0x4b000000
	s_delay_alu instid0(VALU_DEP_4) | instskip(NEXT) | instid1(VALU_DEP_4)
	v_add_f32_e32 v188, 0xcb000008, v146
	v_lshrrev_b32_e32 v146, 4, v149
	v_lshrrev_b32_e32 v189, 8, v149
	s_delay_alu instid0(VALU_DEP_4) | instskip(NEXT) | instid1(VALU_DEP_3)
	v_add_f32_e32 v191, 0xcb000008, v148
	v_and_or_b32 v146, v146, 15, 0x4b000000
	v_add_f32_e32 v190, 0xcb000008, v147
	v_lshrrev_b32_e32 v147, 12, v149
	v_and_or_b32 v189, v189, 15, 0x4b000000
	v_and_or_b32 v149, v149, 15, 0x4b000000
	v_add_f32_e32 v193, 0xcb000008, v146
	s_delay_alu instid0(VALU_DEP_4) | instskip(NEXT) | instid1(VALU_DEP_4)
	v_and_or_b32 v147, v147, 15, 0x4b000000
	v_add_f32_e32 v189, 0xcb000008, v189
	s_waitcnt lgkmcnt(0)
	v_lshrrev_b32_e32 v146, 4, v142
	v_lshrrev_b32_e32 v148, 12, v142
	v_add_f32_e32 v194, 0xcb000008, v147
	v_lshrrev_b32_e32 v147, 8, v142
	s_delay_alu instid0(VALU_DEP_4) | instskip(NEXT) | instid1(VALU_DEP_4)
	v_and_or_b32 v146, v146, 15, 0x4b000000
	v_and_or_b32 v148, v148, 15, 0x4b000000
	s_delay_alu instid0(VALU_DEP_3) | instskip(SKIP_3) | instid1(VALU_DEP_4)
	v_and_or_b32 v147, v147, 15, 0x4b000000
	v_add_f32_e32 v192, 0xcb000008, v149
	v_and_or_b32 v149, v142, 15, 0x4b000000
	v_ashrrev_i32_e32 v142, 16, v142
	v_dual_add_f32 v196, 0xcb000008, v146 :: v_dual_add_f32 v197, 0xcb000008, v147
	s_delay_alu instid0(VALU_DEP_3) | instskip(NEXT) | instid1(VALU_DEP_3)
	v_add_f32_e32 v195, 0xcb000008, v149
	v_lshrrev_b32_e32 v146, 4, v142
	v_lshrrev_b32_e32 v149, 8, v142
	;; [unrolled: 1-line block ×3, first 2 shown]
	v_and_or_b32 v142, v142, 15, 0x4b000000
	v_add_f32_e32 v198, 0xcb000008, v148
	v_and_or_b32 v146, v146, 15, 0x4b000000
	v_and_or_b32 v149, v149, 15, 0x4b000000
	v_and_or_b32 v147, v147, 15, 0x4b000000
	v_add_f32_e32 v199, 0xcb000008, v142
	v_lshrrev_b32_e32 v142, 4, v143
	s_delay_alu instid0(VALU_DEP_4)
	v_dual_add_f32 v200, 0xcb000008, v146 :: v_dual_add_f32 v201, 0xcb000008, v149
	v_lshrrev_b32_e32 v146, 8, v143
	v_and_or_b32 v148, v143, 15, 0x4b000000
	v_add_f32_e32 v202, 0xcb000008, v147
	v_lshrrev_b32_e32 v147, 12, v143
	v_and_or_b32 v142, v142, 15, 0x4b000000
	v_ashrrev_i32_e32 v143, 16, v143
	v_add_f32_e32 v203, 0xcb000008, v148
	v_and_or_b32 v146, v146, 15, 0x4b000000
	v_and_or_b32 v147, v147, 15, 0x4b000000
	v_add_f32_e32 v204, 0xcb000008, v142
	v_lshrrev_b32_e32 v142, 4, v143
	v_lshrrev_b32_e32 v148, 8, v143
	s_delay_alu instid0(VALU_DEP_4) | instskip(SKIP_1) | instid1(VALU_DEP_4)
	v_dual_add_f32 v205, 0xcb000008, v146 :: v_dual_add_f32 v206, 0xcb000008, v147
	v_lshrrev_b32_e32 v146, 12, v143
	v_and_or_b32 v142, v142, 15, 0x4b000000
	v_and_or_b32 v143, v143, 15, 0x4b000000
	;; [unrolled: 1-line block ×5, first 2 shown]
	v_add_f32_e32 v208, 0xcb000008, v142
	v_lshrrev_b32_e32 v142, 4, v144
	v_add_f32_e32 v209, 0xcb000008, v148
	s_delay_alu instid0(VALU_DEP_4)
	v_dual_add_f32 v207, 0xcb000008, v143 :: v_dual_add_f32 v210, 0xcb000008, v146
	v_add_f32_e32 v211, 0xcb000008, v147
	v_lshrrev_b32_e32 v143, 8, v144
	v_lshrrev_b32_e32 v146, 12, v144
	v_and_or_b32 v142, v142, 15, 0x4b000000
	v_ashrrev_i32_e32 v144, 16, v144
	s_delay_alu instid0(VALU_DEP_4) | instskip(NEXT) | instid1(VALU_DEP_4)
	v_and_or_b32 v143, v143, 15, 0x4b000000
	v_and_or_b32 v146, v146, 15, 0x4b000000
	s_delay_alu instid0(VALU_DEP_4) | instskip(NEXT) | instid1(VALU_DEP_4)
	v_add_f32_e32 v212, 0xcb000008, v142
	v_lshrrev_b32_e32 v142, 4, v144
	v_lshrrev_b32_e32 v147, 8, v144
	v_add_f32_e32 v213, 0xcb000008, v143
	v_lshrrev_b32_e32 v143, 12, v144
	v_and_or_b32 v144, v144, 15, 0x4b000000
	v_and_or_b32 v142, v142, 15, 0x4b000000
	;; [unrolled: 1-line block ×3, first 2 shown]
	v_add_f32_e32 v214, 0xcb000008, v146
	v_and_or_b32 v143, v143, 15, 0x4b000000
	s_delay_alu instid0(VALU_DEP_4) | instskip(NEXT) | instid1(VALU_DEP_4)
	v_dual_add_f32 v215, 0xcb000008, v144 :: v_dual_add_f32 v216, 0xcb000008, v142
	v_add_f32_e32 v217, 0xcb000008, v147
	v_lshrrev_b32_e32 v142, 4, v145
	v_lshrrev_b32_e32 v144, 12, v145
	v_and_or_b32 v146, v145, 15, 0x4b000000
	v_add_f32_e32 v218, 0xcb000008, v143
	v_lshrrev_b32_e32 v143, 8, v145
	v_and_or_b32 v142, v142, 15, 0x4b000000
	v_ashrrev_i32_e32 v145, 16, v145
	v_add_f32_e32 v219, 0xcb000008, v146
	v_and_or_b32 v144, v144, 15, 0x4b000000
	v_and_or_b32 v143, v143, 15, 0x4b000000
	v_add_f32_e32 v220, 0xcb000008, v142
	v_lshrrev_b32_e32 v142, 4, v145
	v_lshrrev_b32_e32 v146, 8, v145
	;; [unrolled: 1-line block ×3, first 2 shown]
	v_add_f32_e32 v221, 0xcb000008, v143
	v_and_or_b32 v143, v145, 15, 0x4b000000
	v_and_or_b32 v142, v142, 15, 0x4b000000
	;; [unrolled: 1-line block ×4, first 2 shown]
	s_delay_alu instid0(VALU_DEP_4) | instskip(NEXT) | instid1(VALU_DEP_3)
	v_dual_add_f32 v222, 0xcb000008, v144 :: v_dual_add_f32 v223, 0xcb000008, v143
	v_dual_add_f32 v224, 0xcb000008, v142 :: v_dual_add_f32 v225, 0xcb000008, v145
	s_delay_alu instid0(VALU_DEP_3)
	v_add_f32_e32 v226, 0xcb000008, v146
	; sched_barrier mask(0x00000000)
	s_barrier
	; sched_barrier mask(0x00000000)
	v_perm_b32 v142, v89, v90, 0x7060302
	v_perm_b32 v143, v91, v92, 0x7060302
	;; [unrolled: 1-line block ×16, first 2 shown]
	v_wmma_f32_16x16x16_bf16 v[1:8], v[65:72], v[142:149], v[1:8]
	s_delay_alu instid0(VALU_DEP_1)
	v_wmma_f32_16x16x16_bf16 v[1:8], v[57:64], v[117:124], v[1:8]
	; sched_barrier mask(0x00000000)
	s_setprio 1
	; sched_barrier mask(0x00000000)
	v_perm_b32 v57, v102, v103, 0x7060302
	v_perm_b32 v58, v104, v105, 0x7060302
	;; [unrolled: 1-line block ×16, first 2 shown]
	v_wmma_f32_16x16x16_bf16 v[1:8], v[49:56], v[57:64], v[1:8]
	v_perm_b32 v54, v190, v191, 0x7060302
	v_perm_b32 v53, v187, v188, 0x7060302
	;; [unrolled: 1-line block ×4, first 2 shown]
	v_wmma_f32_16x16x16_bf16 v[1:8], v[41:48], v[65:72], v[1:8]
	v_perm_b32 v41, v163, v164, 0x7060302
	v_perm_b32 v42, v165, v166, 0x7060302
	;; [unrolled: 1-line block ×12, first 2 shown]
	v_wmma_f32_16x16x16_bf16 v[1:8], v[33:40], v[41:48], v[1:8]
	v_perm_b32 v38, v221, v222, 0x7060302
	v_perm_b32 v37, v219, v220, 0x7060302
	;; [unrolled: 1-line block ×4, first 2 shown]
	v_wmma_f32_16x16x16_bf16 v[1:8], v[25:32], v[49:56], v[1:8]
	v_perm_b32 v25, v195, v196, 0x7060302
	v_perm_b32 v26, v197, v198, 0x7060302
	;; [unrolled: 1-line block ×12, first 2 shown]
	; sched_barrier mask(0x00000000)
	s_waitcnt lgkmcnt(0)
	s_barrier
	; sched_barrier mask(0x00000000)
	v_wmma_f32_16x16x16_bf16 v[1:8], v[17:24], v[25:32], v[1:8]
	s_delay_alu instid0(VALU_DEP_1) | instskip(SKIP_2) | instid1(VALU_DEP_1)
	v_wmma_f32_16x16x16_bf16 v[1:8], v[9:16], v[33:40], v[1:8]
	; sched_barrier mask(0x00000000)
	s_setprio 0
	; sched_barrier mask(0x00000000)
	v_lshl_add_u32 v0, v129, 1, v133
	v_lshl_add_u32 v9, v77, 1, v0
	ds_store_b128 v0, v[85:88]
	ds_store_b128 v9, v[81:84] offset:256
	ds_store_b128 v132, v[73:76] offset:4096
	scratch_load_b128 v[9:12], off, off     ; 16-byte Folded Reload
	s_waitcnt vmcnt(0)
	ds_store_b128 v247, v[9:12] offset:4096
	s_waitcnt lgkmcnt(0)
	s_barrier
	ds_load_b128 v[69:72], v246 offset:4096
	ds_load_b128 v[65:68], v231
	ds_load_b128 v[57:60], v232
	;; [unrolled: 1-line block ×15, first 2 shown]
	ds_load_b128 v[105:108], v230 offset:4096
	ds_load_b128 v[109:112], v229 offset:4096
	s_waitcnt lgkmcnt(17)
	v_lshrrev_b32_e32 v0, 4, v69
	v_lshrrev_b32_e32 v73, 8, v69
	;; [unrolled: 1-line block ×3, first 2 shown]
	v_and_or_b32 v75, v69, 15, 0x4b000000
	v_ashrrev_i32_e32 v69, 16, v69
	v_and_or_b32 v0, v0, 15, 0x4b000000
	v_and_or_b32 v76, v73, 15, 0x4b000000
	;; [unrolled: 1-line block ×3, first 2 shown]
	v_add_f32_e32 v73, 0xcb000008, v75
	v_lshrrev_b32_e32 v79, 4, v69
	v_add_f32_e32 v74, 0xcb000008, v0
	v_and_or_b32 v78, v69, 15, 0x4b000000
	v_lshrrev_b32_e32 v80, 8, v69
	v_lshrrev_b32_e32 v69, 12, v69
	v_and_or_b32 v0, v79, 15, 0x4b000000
	v_dual_add_f32 v75, 0xcb000008, v76 :: v_dual_add_f32 v76, 0xcb000008, v77
	s_delay_alu instid0(VALU_DEP_4) | instskip(NEXT) | instid1(VALU_DEP_4)
	v_and_or_b32 v79, v80, 15, 0x4b000000
	v_and_or_b32 v69, v69, 15, 0x4b000000
	s_delay_alu instid0(VALU_DEP_4) | instskip(SKIP_1) | instid1(VALU_DEP_3)
	v_dual_add_f32 v77, 0xcb000008, v78 :: v_dual_add_f32 v78, 0xcb000008, v0
	v_lshrrev_b32_e32 v0, 4, v70
	v_dual_add_f32 v79, 0xcb000008, v79 :: v_dual_add_f32 v80, 0xcb000008, v69
	v_lshrrev_b32_e32 v69, 8, v70
	v_lshrrev_b32_e32 v81, 12, v70
	v_and_or_b32 v82, v70, 15, 0x4b000000
	v_and_or_b32 v0, v0, 15, 0x4b000000
	v_ashrrev_i32_e32 v70, 16, v70
	v_and_or_b32 v69, v69, 15, 0x4b000000
	v_and_or_b32 v84, v81, 15, 0x4b000000
	s_delay_alu instid0(VALU_DEP_4) | instskip(NEXT) | instid1(VALU_DEP_4)
	v_dual_add_f32 v81, 0xcb000008, v82 :: v_dual_add_f32 v82, 0xcb000008, v0
	v_lshrrev_b32_e32 v0, 4, v70
	v_lshrrev_b32_e32 v85, 8, v70
	s_delay_alu instid0(VALU_DEP_4)
	v_dual_add_f32 v83, 0xcb000008, v69 :: v_dual_add_f32 v84, 0xcb000008, v84
	v_lshrrev_b32_e32 v69, 12, v70
	v_and_or_b32 v70, v70, 15, 0x4b000000
	v_and_or_b32 v0, v0, 15, 0x4b000000
	;; [unrolled: 1-line block ×5, first 2 shown]
	s_delay_alu instid0(VALU_DEP_4) | instskip(SKIP_1) | instid1(VALU_DEP_3)
	v_dual_add_f32 v85, 0xcb000008, v70 :: v_dual_add_f32 v86, 0xcb000008, v0
	v_lshrrev_b32_e32 v0, 4, v71
	v_dual_add_f32 v87, 0xcb000008, v87 :: v_dual_add_f32 v88, 0xcb000008, v69
	v_lshrrev_b32_e32 v69, 8, v71
	v_lshrrev_b32_e32 v70, 12, v71
	s_delay_alu instid0(VALU_DEP_4)
	v_and_or_b32 v0, v0, 15, 0x4b000000
	v_ashrrev_i32_e32 v71, 16, v71
	v_add_f32_e32 v89, 0xcb000008, v89
	v_and_or_b32 v69, v69, 15, 0x4b000000
	v_and_or_b32 v70, v70, 15, 0x4b000000
	v_add_f32_e32 v90, 0xcb000008, v0
	v_lshrrev_b32_e32 v0, 4, v71
	v_lshrrev_b32_e32 v92, 8, v71
	;; [unrolled: 1-line block ×3, first 2 shown]
	v_dual_add_f32 v91, 0xcb000008, v69 :: v_dual_add_f32 v102, 0xcb000008, v70
	v_and_or_b32 v69, v71, 15, 0x4b000000
	v_and_or_b32 v0, v0, 15, 0x4b000000
	;; [unrolled: 1-line block ×4, first 2 shown]
	v_lshrrev_b32_e32 v70, 8, v72
	s_delay_alu instid0(VALU_DEP_4) | instskip(NEXT) | instid1(VALU_DEP_3)
	v_dual_add_f32 v92, 0xcb000008, v69 :: v_dual_add_f32 v101, 0xcb000008, v0
	v_dual_add_f32 v103, 0xcb000008, v71 :: v_dual_add_f32 v104, 0xcb000008, v93
	v_lshrrev_b32_e32 v0, 4, v72
	v_and_or_b32 v69, v72, 15, 0x4b000000
	v_lshrrev_b32_e32 v71, 12, v72
	v_ashrrev_i32_e32 v72, 16, v72
	v_and_or_b32 v70, v70, 15, 0x4b000000
	v_and_or_b32 v0, v0, 15, 0x4b000000
	v_add_f32_e32 v93, 0xcb000008, v69
	v_and_or_b32 v71, v71, 15, 0x4b000000
	v_lshrrev_b32_e32 v69, 4, v72
	v_lshrrev_b32_e32 v94, 8, v72
	v_dual_add_f32 v0, 0xcb000008, v0 :: v_dual_add_f32 v95, 0xcb000008, v70
	s_delay_alu instid0(VALU_DEP_4)
	v_add_f32_e32 v96, 0xcb000008, v71
	v_lshrrev_b32_e32 v70, 12, v72
	v_and_or_b32 v72, v72, 15, 0x4b000000
	v_and_or_b32 v69, v69, 15, 0x4b000000
	s_waitcnt lgkmcnt(1)
	v_ashrrev_i32_e32 v97, 16, v105
	v_and_or_b32 v94, v94, 15, 0x4b000000
	v_and_or_b32 v70, v70, 15, 0x4b000000
	v_dual_add_f32 v113, 0xcb000008, v72 :: v_dual_add_f32 v114, 0xcb000008, v69
	v_lshrrev_b32_e32 v69, 4, v105
	v_lshrrev_b32_e32 v71, 12, v105
	v_and_or_b32 v72, v105, 15, 0x4b000000
	v_add_f32_e32 v94, 0xcb000008, v94
	s_waitcnt lgkmcnt(0)
	v_lshrrev_b32_e32 v165, 4, v112
	v_and_or_b32 v69, v69, 15, 0x4b000000
	v_add_f32_e32 v115, 0xcb000008, v70
	v_lshrrev_b32_e32 v70, 8, v105
	v_and_or_b32 v71, v71, 15, 0x4b000000
	s_delay_alu instid0(VALU_DEP_4) | instskip(SKIP_1) | instid1(VALU_DEP_4)
	v_dual_add_f32 v105, 0xcb000008, v72 :: v_dual_add_f32 v116, 0xcb000008, v69
	v_lshrrev_b32_e32 v69, 4, v97
	v_and_or_b32 v70, v70, 15, 0x4b000000
	v_lshrrev_b32_e32 v72, 8, v97
	v_add_f32_e32 v118, 0xcb000008, v71
	v_lshrrev_b32_e32 v71, 12, v106
	v_and_or_b32 v69, v69, 15, 0x4b000000
	v_add_f32_e32 v117, 0xcb000008, v70
	v_lshrrev_b32_e32 v70, 12, v97
	v_and_or_b32 v97, v97, 15, 0x4b000000
	v_and_or_b32 v72, v72, 15, 0x4b000000
	v_add_f32_e32 v120, 0xcb000008, v69
	v_lshrrev_b32_e32 v69, 4, v106
	v_and_or_b32 v70, v70, 15, 0x4b000000
	v_add_f32_e32 v119, 0xcb000008, v97
	v_add_f32_e32 v121, 0xcb000008, v72
	v_and_or_b32 v72, v106, 15, 0x4b000000
	v_and_or_b32 v69, v69, 15, 0x4b000000
	v_add_f32_e32 v122, 0xcb000008, v70
	v_lshrrev_b32_e32 v70, 8, v106
	v_ashrrev_i32_e32 v97, 16, v106
	s_delay_alu instid0(VALU_DEP_4) | instskip(SKIP_1) | instid1(VALU_DEP_4)
	v_dual_add_f32 v106, 0xcb000008, v72 :: v_dual_add_f32 v123, 0xcb000008, v69
	v_and_or_b32 v71, v71, 15, 0x4b000000
	v_and_or_b32 v70, v70, 15, 0x4b000000
	s_delay_alu instid0(VALU_DEP_4) | instskip(SKIP_2) | instid1(VALU_DEP_4)
	v_lshrrev_b32_e32 v69, 4, v97
	v_lshrrev_b32_e32 v72, 8, v97
	;; [unrolled: 1-line block ×3, first 2 shown]
	v_dual_add_f32 v125, 0xcb000008, v71 :: v_dual_add_f32 v124, 0xcb000008, v70
	v_lshrrev_b32_e32 v70, 12, v97
	v_and_or_b32 v69, v69, 15, 0x4b000000
	v_and_or_b32 v97, v97, 15, 0x4b000000
	v_and_or_b32 v72, v72, 15, 0x4b000000
	v_lshrrev_b32_e32 v71, 12, v107
	v_and_or_b32 v70, v70, 15, 0x4b000000
	v_add_f32_e32 v127, 0xcb000008, v69
	v_lshrrev_b32_e32 v69, 4, v107
	v_add_f32_e32 v128, 0xcb000008, v72
	s_delay_alu instid0(VALU_DEP_4)
	v_dual_add_f32 v126, 0xcb000008, v97 :: v_dual_add_f32 v129, 0xcb000008, v70
	v_lshrrev_b32_e32 v70, 8, v107
	v_and_or_b32 v72, v107, 15, 0x4b000000
	v_and_or_b32 v69, v69, 15, 0x4b000000
	v_ashrrev_i32_e32 v97, 16, v107
	v_and_or_b32 v71, v71, 15, 0x4b000000
	v_and_or_b32 v70, v70, 15, 0x4b000000
	s_delay_alu instid0(VALU_DEP_4) | instskip(NEXT) | instid1(VALU_DEP_4)
	v_dual_add_f32 v107, 0xcb000008, v72 :: v_dual_add_f32 v130, 0xcb000008, v69
	v_lshrrev_b32_e32 v69, 4, v97
	v_lshrrev_b32_e32 v72, 8, v97
	s_delay_alu instid0(VALU_DEP_4) | instskip(SKIP_1) | instid1(VALU_DEP_4)
	v_dual_add_f32 v131, 0xcb000008, v70 :: v_dual_add_f32 v132, 0xcb000008, v71
	v_lshrrev_b32_e32 v70, 12, v97
	v_and_or_b32 v69, v69, 15, 0x4b000000
	v_and_or_b32 v97, v97, 15, 0x4b000000
	v_and_or_b32 v72, v72, 15, 0x4b000000
	v_lshrrev_b32_e32 v71, 12, v108
	v_and_or_b32 v70, v70, 15, 0x4b000000
	v_add_f32_e32 v134, 0xcb000008, v69
	v_lshrrev_b32_e32 v69, 4, v108
	v_add_f32_e32 v135, 0xcb000008, v72
	s_delay_alu instid0(VALU_DEP_4)
	v_dual_add_f32 v133, 0xcb000008, v97 :: v_dual_add_f32 v136, 0xcb000008, v70
	v_lshrrev_b32_e32 v70, 8, v108
	v_and_or_b32 v72, v108, 15, 0x4b000000
	v_and_or_b32 v69, v69, 15, 0x4b000000
	v_ashrrev_i32_e32 v97, 16, v108
	v_and_or_b32 v71, v71, 15, 0x4b000000
	v_and_or_b32 v70, v70, 15, 0x4b000000
	s_delay_alu instid0(VALU_DEP_4) | instskip(NEXT) | instid1(VALU_DEP_4)
	v_dual_add_f32 v108, 0xcb000008, v72 :: v_dual_add_f32 v137, 0xcb000008, v69
	v_lshrrev_b32_e32 v69, 4, v97
	v_lshrrev_b32_e32 v72, 8, v97
	s_delay_alu instid0(VALU_DEP_4) | instskip(SKIP_1) | instid1(VALU_DEP_4)
	;; [unrolled: 23-line block ×4, first 2 shown]
	v_dual_add_f32 v152, 0xcb000008, v70 :: v_dual_add_f32 v153, 0xcb000008, v71
	v_lshrrev_b32_e32 v70, 12, v97
	v_and_or_b32 v69, v69, 15, 0x4b000000
	v_and_or_b32 v97, v97, 15, 0x4b000000
	;; [unrolled: 1-line block ×3, first 2 shown]
	v_lshrrev_b32_e32 v71, 12, v111
	v_and_or_b32 v70, v70, 15, 0x4b000000
	v_add_f32_e32 v155, 0xcb000008, v69
	v_lshrrev_b32_e32 v69, 4, v111
	v_add_f32_e32 v156, 0xcb000008, v72
	s_delay_alu instid0(VALU_DEP_4)
	v_dual_add_f32 v154, 0xcb000008, v97 :: v_dual_add_f32 v157, 0xcb000008, v70
	v_lshrrev_b32_e32 v70, 8, v111
	v_and_or_b32 v72, v111, 15, 0x4b000000
	v_and_or_b32 v69, v69, 15, 0x4b000000
	v_ashrrev_i32_e32 v97, 16, v111
	v_and_or_b32 v71, v71, 15, 0x4b000000
	v_and_or_b32 v70, v70, 15, 0x4b000000
	s_delay_alu instid0(VALU_DEP_4) | instskip(NEXT) | instid1(VALU_DEP_4)
	v_dual_add_f32 v111, 0xcb000008, v72 :: v_dual_add_f32 v158, 0xcb000008, v69
	v_lshrrev_b32_e32 v69, 4, v97
	v_lshrrev_b32_e32 v72, 8, v97
	;; [unrolled: 1-line block ×3, first 2 shown]
	v_dual_add_f32 v159, 0xcb000008, v70 :: v_dual_add_f32 v160, 0xcb000008, v71
	v_and_or_b32 v70, v97, 15, 0x4b000000
	v_and_or_b32 v69, v69, 15, 0x4b000000
	v_and_or_b32 v72, v72, 15, 0x4b000000
	v_and_or_b32 v97, v98, 15, 0x4b000000
	v_lshrrev_b32_e32 v167, 12, v112
	s_delay_alu instid0(VALU_DEP_4) | instskip(NEXT) | instid1(VALU_DEP_3)
	v_dual_add_f32 v161, 0xcb000008, v70 :: v_dual_add_f32 v162, 0xcb000008, v69
	v_dual_add_f32 v163, 0xcb000008, v72 :: v_dual_add_f32 v164, 0xcb000008, v97
	ds_load_b128 v[69:72], v227
	ds_load_b128 v[97:100], v228 offset:4096
	v_and_or_b32 v168, v112, 15, 0x4b000000
	v_ashrrev_i32_e32 v112, 16, v112
	v_and_or_b32 v165, v165, 15, 0x4b000000
	v_and_or_b32 v166, v166, 15, 0x4b000000
	;; [unrolled: 1-line block ×3, first 2 shown]
	v_add_f32_e32 v168, 0xcb000008, v168
	v_lshrrev_b32_e32 v169, 4, v112
	v_add_f32_e32 v165, 0xcb000008, v165
	v_lshrrev_b32_e32 v170, 8, v112
	v_lshrrev_b32_e32 v171, 12, v112
	v_and_or_b32 v112, v112, 15, 0x4b000000
	v_and_or_b32 v169, v169, 15, 0x4b000000
	v_dual_add_f32 v166, 0xcb000008, v166 :: v_dual_add_f32 v167, 0xcb000008, v167
	v_and_or_b32 v170, v170, 15, 0x4b000000
	v_and_or_b32 v171, v171, 15, 0x4b000000
	s_delay_alu instid0(VALU_DEP_4)
	v_dual_add_f32 v112, 0xcb000008, v112 :: v_dual_add_f32 v169, 0xcb000008, v169
	s_waitcnt lgkmcnt(0)
	v_lshrrev_b32_e32 v172, 4, v97
	v_lshrrev_b32_e32 v173, 8, v97
	v_lshrrev_b32_e32 v174, 12, v97
	v_and_or_b32 v175, v97, 15, 0x4b000000
	v_ashrrev_i32_e32 v97, 16, v97
	v_lshrrev_b32_e32 v179, 4, v98
	v_lshrrev_b32_e32 v180, 8, v98
	v_lshrrev_b32_e32 v181, 12, v98
	v_and_or_b32 v182, v98, 15, 0x4b000000
	v_ashrrev_i32_e32 v98, 16, v98
	;; [unrolled: 5-line block ×4, first 2 shown]
	v_lshrrev_b32_e32 v176, 4, v97
	v_lshrrev_b32_e32 v177, 8, v97
	;; [unrolled: 1-line block ×12, first 2 shown]
	v_and_or_b32 v172, v172, 15, 0x4b000000
	v_and_or_b32 v173, v173, 15, 0x4b000000
	v_and_or_b32 v174, v174, 15, 0x4b000000
	v_and_or_b32 v97, v97, 15, 0x4b000000
	v_and_or_b32 v176, v176, 15, 0x4b000000
	v_and_or_b32 v177, v177, 15, 0x4b000000
	v_and_or_b32 v178, v178, 15, 0x4b000000
	v_and_or_b32 v179, v179, 15, 0x4b000000
	v_and_or_b32 v180, v180, 15, 0x4b000000
	v_and_or_b32 v181, v181, 15, 0x4b000000
	v_and_or_b32 v98, v98, 15, 0x4b000000
	v_and_or_b32 v183, v183, 15, 0x4b000000
	v_and_or_b32 v184, v184, 15, 0x4b000000
	v_and_or_b32 v185, v185, 15, 0x4b000000
	v_and_or_b32 v186, v186, 15, 0x4b000000
	v_and_or_b32 v187, v187, 15, 0x4b000000
	v_and_or_b32 v188, v188, 15, 0x4b000000
	v_and_or_b32 v99, v99, 15, 0x4b000000
	v_and_or_b32 v190, v190, 15, 0x4b000000
	v_and_or_b32 v191, v191, 15, 0x4b000000
	v_and_or_b32 v192, v192, 15, 0x4b000000
	v_and_or_b32 v193, v193, 15, 0x4b000000
	v_and_or_b32 v194, v194, 15, 0x4b000000
	v_and_or_b32 v195, v195, 15, 0x4b000000
	v_and_or_b32 v100, v100, 15, 0x4b000000
	v_and_or_b32 v197, v197, 15, 0x4b000000
	v_and_or_b32 v198, v198, 15, 0x4b000000
	v_and_or_b32 v199, v199, 15, 0x4b000000
	v_dual_add_f32 v170, 0xcb000008, v170 :: v_dual_add_f32 v171, 0xcb000008, v171
	v_dual_add_f32 v175, 0xcb000008, v175 :: v_dual_add_f32 v172, 0xcb000008, v172
	;; [unrolled: 1-line block ×17, first 2 shown]
	; sched_barrier mask(0x00000000)
	s_barrier
	; sched_barrier mask(0x00000000)
	v_perm_b32 v73, v73, v74, 0x7060302
	v_perm_b32 v74, v75, v76, 0x7060302
	;; [unrolled: 1-line block ×16, first 2 shown]
	v_wmma_f32_16x16x16_bf16 v[1:8], v[65:72], v[73:80], v[1:8]
	s_delay_alu instid0(VALU_DEP_1)
	v_wmma_f32_16x16x16_bf16 v[1:8], v[57:64], v[81:88], v[1:8]
	; sched_barrier mask(0x00000000)
	s_setprio 1
	; sched_barrier mask(0x00000000)
	v_perm_b32 v57, v105, v116, 0x7060302
	v_perm_b32 v58, v117, v118, 0x7060302
	;; [unrolled: 1-line block ×16, first 2 shown]
	v_wmma_f32_16x16x16_bf16 v[1:8], v[49:56], v[57:64], v[1:8]
	v_perm_b32 v54, v166, v167, 0x7060302
	v_perm_b32 v53, v168, v165, 0x7060302
	;; [unrolled: 1-line block ×4, first 2 shown]
	v_wmma_f32_16x16x16_bf16 v[1:8], v[41:48], v[65:72], v[1:8]
	v_perm_b32 v41, v109, v144, 0x7060302
	v_perm_b32 v42, v145, v146, 0x7060302
	;; [unrolled: 1-line block ×12, first 2 shown]
	v_wmma_f32_16x16x16_bf16 v[1:8], v[33:40], v[41:48], v[1:8]
	v_perm_b32 v38, v194, v195, 0x7060302
	v_perm_b32 v37, v196, v193, 0x7060302
	;; [unrolled: 1-line block ×4, first 2 shown]
	v_wmma_f32_16x16x16_bf16 v[1:8], v[25:32], v[49:56], v[1:8]
	v_perm_b32 v25, v175, v172, 0x7060302
	v_perm_b32 v26, v173, v174, 0x7060302
	;; [unrolled: 1-line block ×12, first 2 shown]
	; sched_barrier mask(0x00000000)
	s_waitcnt lgkmcnt(0)
	s_barrier
	; sched_barrier mask(0x00000000)
	v_wmma_f32_16x16x16_bf16 v[1:8], v[17:24], v[25:32], v[1:8]
	s_delay_alu instid0(VALU_DEP_1)
	v_wmma_f32_16x16x16_bf16 v[1:8], v[9:16], v[33:40], v[1:8]
	; sched_barrier mask(0x00000000)
	s_setprio 0
	; sched_barrier mask(0x00000000)
	s_clause 0x2
	scratch_load_b32 v0, off, off offset:236
	scratch_load_b32 v18, off, off offset:240
	scratch_load_b32 v10, off, off offset:244
	s_waitcnt lgkmcnt(0)
	s_clause 0x1
	scratch_load_b32 v15, off, off offset:132
	scratch_load_b32 v16, off, off offset:248
	v_bfe_u32 v9, v1, 16, 1
	v_cmp_o_f32_e32 vcc_lo, v1, v1
	v_bfe_u32 v12, v2, 16, 1
	v_bfe_u32 v17, v8, 16, 1
	s_waitcnt vmcnt(0)
	s_barrier
	v_add3_u32 v9, v1, v9, 0x7fff
	s_mov_b32 s15, 0x31004000
	v_add3_u32 v12, v2, v12, 0x7fff
	s_delay_alu instid0(VALU_DEP_2) | instskip(NEXT) | instid1(VALU_DEP_1)
	v_lshrrev_b32_e32 v9, 16, v9
	v_cndmask_b32_e32 v1, 0x7fc0, v9, vcc_lo
	s_delay_alu instid0(VALU_DEP_3) | instskip(SKIP_1) | instid1(VALU_DEP_2)
	v_lshrrev_b32_e32 v9, 16, v12
	v_cmp_o_f32_e32 vcc_lo, v2, v2
	v_cndmask_b32_e32 v2, 0x7fc0, v9, vcc_lo
	v_cmp_o_f32_e32 vcc_lo, v3, v3
	v_lshlrev_b32_e32 v0, 5, v0
	v_lshl_or_b32 v11, s11, 4, v18
	s_delay_alu instid0(VALU_DEP_2) | instskip(NEXT) | instid1(VALU_DEP_2)
	v_and_b32_e32 v0, 0x200, v0
	v_mul_lo_u32 v14, v11, s9
	v_cmp_gt_i32_e64 s0, s4, v11
	s_delay_alu instid0(VALU_DEP_3) | instskip(SKIP_2) | instid1(VALU_DEP_2)
	v_or3_b32 v0, v0, v15, v16
	v_bfe_u32 v15, v3, 16, 1
	v_bfe_u32 v16, v6, 16, 1
	v_add3_u32 v12, v3, v15, 0x7fff
	v_bfe_u32 v15, v4, 16, 1
	s_delay_alu instid0(VALU_DEP_2) | instskip(NEXT) | instid1(VALU_DEP_2)
	v_lshrrev_b32_e32 v9, 16, v12
	v_add3_u32 v12, v4, v15, 0x7fff
	v_bfe_u32 v15, v5, 16, 1
	s_delay_alu instid0(VALU_DEP_3) | instskip(NEXT) | instid1(VALU_DEP_3)
	v_dual_cndmask_b32 v3, 0x7fc0, v9 :: v_dual_and_b32 v10, 56, v10
	v_lshrrev_b32_e32 v9, 16, v12
	s_delay_alu instid0(VALU_DEP_3)
	v_add3_u32 v12, v5, v15, 0x7fff
	v_cmp_o_f32_e32 vcc_lo, v4, v4
	v_add3_u32 v15, v6, v16, 0x7fff
	v_bfe_u32 v16, v7, 16, 1
	v_or_b32_e32 v13, s6, v10
	v_cndmask_b32_e32 v4, 0x7fc0, v9, vcc_lo
	v_lshrrev_b32_e32 v9, 16, v12
	v_cmp_o_f32_e32 vcc_lo, v5, v5
	v_lshlrev_b32_e32 v0, 1, v0
	v_add3_u32 v12, v7, v16, 0x7fff
	v_lshrrev_b32_e32 v15, 16, v15
	v_add3_u32 v16, v8, v17, 0x7fff
	v_cndmask_b32_e32 v5, 0x7fc0, v9, vcc_lo
	v_cmp_o_f32_e32 vcc_lo, v6, v6
	v_lshrrev_b32_e32 v9, 16, v12
	s_delay_alu instid0(VALU_DEP_4) | instskip(SKIP_2) | instid1(VALU_DEP_4)
	v_lshrrev_b32_e32 v12, 16, v16
	v_cndmask_b32_e32 v6, 0x7fc0, v15, vcc_lo
	v_cmp_o_f32_e32 vcc_lo, v7, v7
	v_dual_cndmask_b32 v7, 0x7fc0, v9 :: v_dual_lshlrev_b32 v10, 1, v10
	v_cmp_o_f32_e32 vcc_lo, v8, v8
	s_delay_alu instid0(VALU_DEP_2)
	v_lshl_or_b32 v9, v18, 7, v10
	v_cndmask_b32_e32 v8, 0x7fc0, v12, vcc_lo
	ds_store_b16 v0, v1
	ds_store_b16 v0, v2 offset:128
	ds_store_b16 v0, v3 offset:256
	;; [unrolled: 1-line block ×7, first 2 shown]
	v_or_b32_e32 v4, 4, v13
	s_waitcnt lgkmcnt(0)
	s_barrier
	ds_load_2addr_b64 v[0:3], v9 offset1:1
	v_cmp_gt_i32_e32 vcc_lo, s5, v13
	v_cmp_gt_i32_e64 s1, s5, v4
	v_add_lshl_u32 v4, v14, v13, 1
	s_and_b32 s3, s0, vcc_lo
	s_delay_alu instid0(VALU_DEP_2) | instskip(SKIP_3) | instid1(SALU_CYCLE_1)
	s_and_b32 s0, s0, s1
	v_cndmask_b32_e64 v5, 0x80000000, 0, s3
	v_cndmask_b32_e64 v6, 0x80000000, 0, s0
	s_add_i32 s0, s5, s2
	s_lshl_b32 s14, s0, 1
	s_delay_alu instid0(VALU_DEP_2) | instskip(NEXT) | instid1(VALU_DEP_2)
	v_add_nc_u32_e32 v5, v5, v4
	v_add_nc_u32_e32 v4, v4, v6
	s_waitcnt lgkmcnt(0)
	s_clause 0x1
	buffer_store_b64 v[0:1], v5, s[12:15], 0 offen
	buffer_store_b64 v[2:3], v4, s[12:15], 0 offen offset:8
	s_nop 0
	s_sendmsg sendmsg(MSG_DEALLOC_VGPRS)
	s_endpgm
	.section	.rodata,"a",@progbits
	.p2align	6, 0x0
	.amdhsa_kernel _ZN2ck27kernel_gemm_xdl_cshuffle_v3INS_28GridwiseGemm_xdl_cshuffle_v3INS_13tensor_layout4gemm8RowMajorENS3_11ColumnMajorES4_tNS_7pk_i4_tEfttNS_16tensor_operation12element_wise11PassThroughES9_S9_LNS7_6device18GemmSpecializationE0ELi128ELi16ELi64ELi128ELi8ELi32ELi16ELi16ELi1ELi1ENS_8SequenceIJLi16ELi8ELi1EEEENSC_IJLi1ELi0ELi2EEEESE_Li2ELi8ELi8ELb0ELi0ENSC_IJLi4ELi32ELi1EEEESE_SE_Li2ELi32ELi32ELb0ELi0ELi1ELi1ENSC_IJLi1ELi16ELi1ELi8EEEELi4ELNS_26BlockGemmPipelineSchedulerE1ELNS_24BlockGemmPipelineVersionE1EttLb0ELb1ELb0ELi0ELb0EEELb1ELNS_25InMemoryDataOperationEnumE0ELi2ELNS_10TailNumberE3EEEvNT_8ArgumentE
		.amdhsa_group_segment_fixed_size 8192
		.amdhsa_private_segment_fixed_size 256
		.amdhsa_kernarg_size 112
		.amdhsa_user_sgpr_count 14
		.amdhsa_user_sgpr_dispatch_ptr 0
		.amdhsa_user_sgpr_queue_ptr 0
		.amdhsa_user_sgpr_kernarg_segment_ptr 1
		.amdhsa_user_sgpr_dispatch_id 0
		.amdhsa_user_sgpr_private_segment_size 0
		.amdhsa_wavefront_size32 1
		.amdhsa_uses_dynamic_stack 0
		.amdhsa_enable_private_segment 1
		.amdhsa_system_sgpr_workgroup_id_x 1
		.amdhsa_system_sgpr_workgroup_id_y 0
		.amdhsa_system_sgpr_workgroup_id_z 1
		.amdhsa_system_sgpr_workgroup_info 0
		.amdhsa_system_vgpr_workitem_id 0
		.amdhsa_next_free_vgpr 256
		.amdhsa_next_free_sgpr 29
		.amdhsa_reserve_vcc 1
		.amdhsa_float_round_mode_32 0
		.amdhsa_float_round_mode_16_64 0
		.amdhsa_float_denorm_mode_32 3
		.amdhsa_float_denorm_mode_16_64 3
		.amdhsa_dx10_clamp 1
		.amdhsa_ieee_mode 1
		.amdhsa_fp16_overflow 0
		.amdhsa_workgroup_processor_mode 1
		.amdhsa_memory_ordered 1
		.amdhsa_forward_progress 0
		.amdhsa_shared_vgpr_count 0
		.amdhsa_exception_fp_ieee_invalid_op 0
		.amdhsa_exception_fp_denorm_src 0
		.amdhsa_exception_fp_ieee_div_zero 0
		.amdhsa_exception_fp_ieee_overflow 0
		.amdhsa_exception_fp_ieee_underflow 0
		.amdhsa_exception_fp_ieee_inexact 0
		.amdhsa_exception_int_div_zero 0
	.end_amdhsa_kernel
	.section	.text._ZN2ck27kernel_gemm_xdl_cshuffle_v3INS_28GridwiseGemm_xdl_cshuffle_v3INS_13tensor_layout4gemm8RowMajorENS3_11ColumnMajorES4_tNS_7pk_i4_tEfttNS_16tensor_operation12element_wise11PassThroughES9_S9_LNS7_6device18GemmSpecializationE0ELi128ELi16ELi64ELi128ELi8ELi32ELi16ELi16ELi1ELi1ENS_8SequenceIJLi16ELi8ELi1EEEENSC_IJLi1ELi0ELi2EEEESE_Li2ELi8ELi8ELb0ELi0ENSC_IJLi4ELi32ELi1EEEESE_SE_Li2ELi32ELi32ELb0ELi0ELi1ELi1ENSC_IJLi1ELi16ELi1ELi8EEEELi4ELNS_26BlockGemmPipelineSchedulerE1ELNS_24BlockGemmPipelineVersionE1EttLb0ELb1ELb0ELi0ELb0EEELb1ELNS_25InMemoryDataOperationEnumE0ELi2ELNS_10TailNumberE3EEEvNT_8ArgumentE,"axG",@progbits,_ZN2ck27kernel_gemm_xdl_cshuffle_v3INS_28GridwiseGemm_xdl_cshuffle_v3INS_13tensor_layout4gemm8RowMajorENS3_11ColumnMajorES4_tNS_7pk_i4_tEfttNS_16tensor_operation12element_wise11PassThroughES9_S9_LNS7_6device18GemmSpecializationE0ELi128ELi16ELi64ELi128ELi8ELi32ELi16ELi16ELi1ELi1ENS_8SequenceIJLi16ELi8ELi1EEEENSC_IJLi1ELi0ELi2EEEESE_Li2ELi8ELi8ELb0ELi0ENSC_IJLi4ELi32ELi1EEEESE_SE_Li2ELi32ELi32ELb0ELi0ELi1ELi1ENSC_IJLi1ELi16ELi1ELi8EEEELi4ELNS_26BlockGemmPipelineSchedulerE1ELNS_24BlockGemmPipelineVersionE1EttLb0ELb1ELb0ELi0ELb0EEELb1ELNS_25InMemoryDataOperationEnumE0ELi2ELNS_10TailNumberE3EEEvNT_8ArgumentE,comdat
.Lfunc_end10:
	.size	_ZN2ck27kernel_gemm_xdl_cshuffle_v3INS_28GridwiseGemm_xdl_cshuffle_v3INS_13tensor_layout4gemm8RowMajorENS3_11ColumnMajorES4_tNS_7pk_i4_tEfttNS_16tensor_operation12element_wise11PassThroughES9_S9_LNS7_6device18GemmSpecializationE0ELi128ELi16ELi64ELi128ELi8ELi32ELi16ELi16ELi1ELi1ENS_8SequenceIJLi16ELi8ELi1EEEENSC_IJLi1ELi0ELi2EEEESE_Li2ELi8ELi8ELb0ELi0ENSC_IJLi4ELi32ELi1EEEESE_SE_Li2ELi32ELi32ELb0ELi0ELi1ELi1ENSC_IJLi1ELi16ELi1ELi8EEEELi4ELNS_26BlockGemmPipelineSchedulerE1ELNS_24BlockGemmPipelineVersionE1EttLb0ELb1ELb0ELi0ELb0EEELb1ELNS_25InMemoryDataOperationEnumE0ELi2ELNS_10TailNumberE3EEEvNT_8ArgumentE, .Lfunc_end10-_ZN2ck27kernel_gemm_xdl_cshuffle_v3INS_28GridwiseGemm_xdl_cshuffle_v3INS_13tensor_layout4gemm8RowMajorENS3_11ColumnMajorES4_tNS_7pk_i4_tEfttNS_16tensor_operation12element_wise11PassThroughES9_S9_LNS7_6device18GemmSpecializationE0ELi128ELi16ELi64ELi128ELi8ELi32ELi16ELi16ELi1ELi1ENS_8SequenceIJLi16ELi8ELi1EEEENSC_IJLi1ELi0ELi2EEEESE_Li2ELi8ELi8ELb0ELi0ENSC_IJLi4ELi32ELi1EEEESE_SE_Li2ELi32ELi32ELb0ELi0ELi1ELi1ENSC_IJLi1ELi16ELi1ELi8EEEELi4ELNS_26BlockGemmPipelineSchedulerE1ELNS_24BlockGemmPipelineVersionE1EttLb0ELb1ELb0ELi0ELb0EEELb1ELNS_25InMemoryDataOperationEnumE0ELi2ELNS_10TailNumberE3EEEvNT_8ArgumentE
                                        ; -- End function
	.section	.AMDGPU.csdata,"",@progbits
; Kernel info:
; codeLenInByte = 24372
; NumSgprs: 31
; NumVgprs: 256
; ScratchSize: 256
; MemoryBound: 0
; FloatMode: 240
; IeeeMode: 1
; LDSByteSize: 8192 bytes/workgroup (compile time only)
; SGPRBlocks: 3
; VGPRBlocks: 31
; NumSGPRsForWavesPerEU: 31
; NumVGPRsForWavesPerEU: 256
; Occupancy: 5
; WaveLimiterHint : 0
; COMPUTE_PGM_RSRC2:SCRATCH_EN: 1
; COMPUTE_PGM_RSRC2:USER_SGPR: 14
; COMPUTE_PGM_RSRC2:TRAP_HANDLER: 0
; COMPUTE_PGM_RSRC2:TGID_X_EN: 1
; COMPUTE_PGM_RSRC2:TGID_Y_EN: 0
; COMPUTE_PGM_RSRC2:TGID_Z_EN: 1
; COMPUTE_PGM_RSRC2:TIDIG_COMP_CNT: 0
	.text
	.p2alignl 7, 3214868480
	.fill 96, 4, 3214868480
	.type	__hip_cuid_657b9bab7ea096b9,@object ; @__hip_cuid_657b9bab7ea096b9
	.section	.bss,"aw",@nobits
	.globl	__hip_cuid_657b9bab7ea096b9
__hip_cuid_657b9bab7ea096b9:
	.byte	0                               ; 0x0
	.size	__hip_cuid_657b9bab7ea096b9, 1

	.ident	"AMD clang version 19.0.0git (https://github.com/RadeonOpenCompute/llvm-project roc-6.4.0 25133 c7fe45cf4b819c5991fe208aaa96edf142730f1d)"
	.section	".note.GNU-stack","",@progbits
	.addrsig
	.addrsig_sym __hip_cuid_657b9bab7ea096b9
	.amdgpu_metadata
---
amdhsa.kernels:
  - .args:           []
    .group_segment_fixed_size: 0
    .kernarg_segment_align: 4
    .kernarg_segment_size: 0
    .language:       OpenCL C
    .language_version:
      - 2
      - 0
    .max_flat_workgroup_size: 1024
    .name:           _ZN2ckL12flush_icacheEv
    .private_segment_fixed_size: 0
    .sgpr_count:     0
    .sgpr_spill_count: 0
    .symbol:         _ZN2ckL12flush_icacheEv.kd
    .uniform_work_group_size: 1
    .uses_dynamic_stack: false
    .vgpr_count:     0
    .vgpr_spill_count: 0
    .wavefront_size: 32
    .workgroup_processor_mode: 1
  - .args:
      - .offset:         0
        .size:           112
        .value_kind:     by_value
    .group_segment_fixed_size: 0
    .kernarg_segment_align: 8
    .kernarg_segment_size: 112
    .language:       OpenCL C
    .language_version:
      - 2
      - 0
    .max_flat_workgroup_size: 128
    .name:           _ZN2ck27kernel_gemm_xdl_cshuffle_v3INS_28GridwiseGemm_xdl_cshuffle_v3INS_13tensor_layout4gemm8RowMajorENS3_11ColumnMajorES4_tNS_7pk_i4_tEfttNS_16tensor_operation12element_wise11PassThroughES9_S9_LNS7_6device18GemmSpecializationE0ELi128ELi16ELi64ELi128ELi8ELi32ELi16ELi16ELi1ELi2ENS_8SequenceIJLi16ELi8ELi1EEEENSC_IJLi1ELi0ELi2EEEESE_Li2ELi8ELi8ELb0ELi0ENSC_IJLi4ELi32ELi1EEEESE_SE_Li2ELi32ELi32ELb0ELi0ELi1ELi1ENSC_IJLi1ELi16ELi1ELi8EEEELi4ELNS_26BlockGemmPipelineSchedulerE1ELNS_24BlockGemmPipelineVersionE1EttLb0ELb1ELb0ELi0ELb0EEELb1ELNS_25InMemoryDataOperationEnumE1ELi2ELNS_10TailNumberE2EEEvNT_8ArgumentE
    .private_segment_fixed_size: 0
    .sgpr_count:     0
    .sgpr_spill_count: 0
    .symbol:         _ZN2ck27kernel_gemm_xdl_cshuffle_v3INS_28GridwiseGemm_xdl_cshuffle_v3INS_13tensor_layout4gemm8RowMajorENS3_11ColumnMajorES4_tNS_7pk_i4_tEfttNS_16tensor_operation12element_wise11PassThroughES9_S9_LNS7_6device18GemmSpecializationE0ELi128ELi16ELi64ELi128ELi8ELi32ELi16ELi16ELi1ELi2ENS_8SequenceIJLi16ELi8ELi1EEEENSC_IJLi1ELi0ELi2EEEESE_Li2ELi8ELi8ELb0ELi0ENSC_IJLi4ELi32ELi1EEEESE_SE_Li2ELi32ELi32ELb0ELi0ELi1ELi1ENSC_IJLi1ELi16ELi1ELi8EEEELi4ELNS_26BlockGemmPipelineSchedulerE1ELNS_24BlockGemmPipelineVersionE1EttLb0ELb1ELb0ELi0ELb0EEELb1ELNS_25InMemoryDataOperationEnumE1ELi2ELNS_10TailNumberE2EEEvNT_8ArgumentE.kd
    .uniform_work_group_size: 1
    .uses_dynamic_stack: false
    .vgpr_count:     0
    .vgpr_spill_count: 0
    .wavefront_size: 32
    .workgroup_processor_mode: 1
  - .args:
      - .offset:         0
        .size:           112
        .value_kind:     by_value
    .group_segment_fixed_size: 0
    .kernarg_segment_align: 8
    .kernarg_segment_size: 112
    .language:       OpenCL C
    .language_version:
      - 2
      - 0
    .max_flat_workgroup_size: 128
    .name:           _ZN2ck27kernel_gemm_xdl_cshuffle_v3INS_28GridwiseGemm_xdl_cshuffle_v3INS_13tensor_layout4gemm8RowMajorENS3_11ColumnMajorES4_tNS_7pk_i4_tEfttNS_16tensor_operation12element_wise11PassThroughES9_S9_LNS7_6device18GemmSpecializationE0ELi128ELi16ELi64ELi128ELi8ELi32ELi16ELi16ELi1ELi2ENS_8SequenceIJLi16ELi8ELi1EEEENSC_IJLi1ELi0ELi2EEEESE_Li2ELi8ELi8ELb0ELi0ENSC_IJLi4ELi32ELi1EEEESE_SE_Li2ELi32ELi32ELb0ELi0ELi1ELi1ENSC_IJLi1ELi16ELi1ELi8EEEELi4ELNS_26BlockGemmPipelineSchedulerE1ELNS_24BlockGemmPipelineVersionE1EttLb0ELb1ELb0ELi0ELb0EEELb1ELNS_25InMemoryDataOperationEnumE1ELi2ELNS_10TailNumberE10EEEvNT_8ArgumentE
    .private_segment_fixed_size: 0
    .sgpr_count:     0
    .sgpr_spill_count: 0
    .symbol:         _ZN2ck27kernel_gemm_xdl_cshuffle_v3INS_28GridwiseGemm_xdl_cshuffle_v3INS_13tensor_layout4gemm8RowMajorENS3_11ColumnMajorES4_tNS_7pk_i4_tEfttNS_16tensor_operation12element_wise11PassThroughES9_S9_LNS7_6device18GemmSpecializationE0ELi128ELi16ELi64ELi128ELi8ELi32ELi16ELi16ELi1ELi2ENS_8SequenceIJLi16ELi8ELi1EEEENSC_IJLi1ELi0ELi2EEEESE_Li2ELi8ELi8ELb0ELi0ENSC_IJLi4ELi32ELi1EEEESE_SE_Li2ELi32ELi32ELb0ELi0ELi1ELi1ENSC_IJLi1ELi16ELi1ELi8EEEELi4ELNS_26BlockGemmPipelineSchedulerE1ELNS_24BlockGemmPipelineVersionE1EttLb0ELb1ELb0ELi0ELb0EEELb1ELNS_25InMemoryDataOperationEnumE1ELi2ELNS_10TailNumberE10EEEvNT_8ArgumentE.kd
    .uniform_work_group_size: 1
    .uses_dynamic_stack: false
    .vgpr_count:     0
    .vgpr_spill_count: 0
    .wavefront_size: 32
    .workgroup_processor_mode: 1
  - .args:
      - .offset:         0
        .size:           112
        .value_kind:     by_value
    .group_segment_fixed_size: 0
    .kernarg_segment_align: 8
    .kernarg_segment_size: 112
    .language:       OpenCL C
    .language_version:
      - 2
      - 0
    .max_flat_workgroup_size: 128
    .name:           _ZN2ck27kernel_gemm_xdl_cshuffle_v3INS_28GridwiseGemm_xdl_cshuffle_v3INS_13tensor_layout4gemm8RowMajorENS3_11ColumnMajorES4_tNS_7pk_i4_tEfttNS_16tensor_operation12element_wise11PassThroughES9_S9_LNS7_6device18GemmSpecializationE0ELi128ELi16ELi64ELi128ELi8ELi32ELi16ELi16ELi1ELi2ENS_8SequenceIJLi16ELi8ELi1EEEENSC_IJLi1ELi0ELi2EEEESE_Li2ELi8ELi8ELb0ELi0ENSC_IJLi4ELi32ELi1EEEESE_SE_Li2ELi32ELi32ELb0ELi0ELi1ELi1ENSC_IJLi1ELi16ELi1ELi8EEEELi4ELNS_26BlockGemmPipelineSchedulerE1ELNS_24BlockGemmPipelineVersionE1EttLb0ELb1ELb0ELi0ELb0EEELb1ELNS_25InMemoryDataOperationEnumE0ELi2ELNS_10TailNumberE2EEEvNT_8ArgumentE
    .private_segment_fixed_size: 0
    .sgpr_count:     0
    .sgpr_spill_count: 0
    .symbol:         _ZN2ck27kernel_gemm_xdl_cshuffle_v3INS_28GridwiseGemm_xdl_cshuffle_v3INS_13tensor_layout4gemm8RowMajorENS3_11ColumnMajorES4_tNS_7pk_i4_tEfttNS_16tensor_operation12element_wise11PassThroughES9_S9_LNS7_6device18GemmSpecializationE0ELi128ELi16ELi64ELi128ELi8ELi32ELi16ELi16ELi1ELi2ENS_8SequenceIJLi16ELi8ELi1EEEENSC_IJLi1ELi0ELi2EEEESE_Li2ELi8ELi8ELb0ELi0ENSC_IJLi4ELi32ELi1EEEESE_SE_Li2ELi32ELi32ELb0ELi0ELi1ELi1ENSC_IJLi1ELi16ELi1ELi8EEEELi4ELNS_26BlockGemmPipelineSchedulerE1ELNS_24BlockGemmPipelineVersionE1EttLb0ELb1ELb0ELi0ELb0EEELb1ELNS_25InMemoryDataOperationEnumE0ELi2ELNS_10TailNumberE2EEEvNT_8ArgumentE.kd
    .uniform_work_group_size: 1
    .uses_dynamic_stack: false
    .vgpr_count:     0
    .vgpr_spill_count: 0
    .wavefront_size: 32
    .workgroup_processor_mode: 1
  - .args:
      - .offset:         0
        .size:           112
        .value_kind:     by_value
    .group_segment_fixed_size: 0
    .kernarg_segment_align: 8
    .kernarg_segment_size: 112
    .language:       OpenCL C
    .language_version:
      - 2
      - 0
    .max_flat_workgroup_size: 128
    .name:           _ZN2ck27kernel_gemm_xdl_cshuffle_v3INS_28GridwiseGemm_xdl_cshuffle_v3INS_13tensor_layout4gemm8RowMajorENS3_11ColumnMajorES4_tNS_7pk_i4_tEfttNS_16tensor_operation12element_wise11PassThroughES9_S9_LNS7_6device18GemmSpecializationE0ELi128ELi16ELi64ELi128ELi8ELi32ELi16ELi16ELi1ELi2ENS_8SequenceIJLi16ELi8ELi1EEEENSC_IJLi1ELi0ELi2EEEESE_Li2ELi8ELi8ELb0ELi0ENSC_IJLi4ELi32ELi1EEEESE_SE_Li2ELi32ELi32ELb0ELi0ELi1ELi1ENSC_IJLi1ELi16ELi1ELi8EEEELi4ELNS_26BlockGemmPipelineSchedulerE1ELNS_24BlockGemmPipelineVersionE1EttLb0ELb1ELb0ELi0ELb0EEELb1ELNS_25InMemoryDataOperationEnumE0ELi2ELNS_10TailNumberE10EEEvNT_8ArgumentE
    .private_segment_fixed_size: 0
    .sgpr_count:     0
    .sgpr_spill_count: 0
    .symbol:         _ZN2ck27kernel_gemm_xdl_cshuffle_v3INS_28GridwiseGemm_xdl_cshuffle_v3INS_13tensor_layout4gemm8RowMajorENS3_11ColumnMajorES4_tNS_7pk_i4_tEfttNS_16tensor_operation12element_wise11PassThroughES9_S9_LNS7_6device18GemmSpecializationE0ELi128ELi16ELi64ELi128ELi8ELi32ELi16ELi16ELi1ELi2ENS_8SequenceIJLi16ELi8ELi1EEEENSC_IJLi1ELi0ELi2EEEESE_Li2ELi8ELi8ELb0ELi0ENSC_IJLi4ELi32ELi1EEEESE_SE_Li2ELi32ELi32ELb0ELi0ELi1ELi1ENSC_IJLi1ELi16ELi1ELi8EEEELi4ELNS_26BlockGemmPipelineSchedulerE1ELNS_24BlockGemmPipelineVersionE1EttLb0ELb1ELb0ELi0ELb0EEELb1ELNS_25InMemoryDataOperationEnumE0ELi2ELNS_10TailNumberE10EEEvNT_8ArgumentE.kd
    .uniform_work_group_size: 1
    .uses_dynamic_stack: false
    .vgpr_count:     0
    .vgpr_spill_count: 0
    .wavefront_size: 32
    .workgroup_processor_mode: 1
  - .args:
      - .offset:         0
        .size:           112
        .value_kind:     by_value
    .group_segment_fixed_size: 0
    .kernarg_segment_align: 8
    .kernarg_segment_size: 112
    .language:       OpenCL C
    .language_version:
      - 2
      - 0
    .max_flat_workgroup_size: 128
    .name:           _ZN2ck27kernel_gemm_xdl_cshuffle_v3INS_28GridwiseGemm_xdl_cshuffle_v3INS_13tensor_layout4gemm8RowMajorENS3_11ColumnMajorES4_tNS_7pk_i4_tEfttNS_16tensor_operation12element_wise11PassThroughES9_S9_LNS7_6device18GemmSpecializationE0ELi128ELi16ELi64ELi128ELi8ELi32ELi16ELi16ELi1ELi1ENS_8SequenceIJLi16ELi8ELi1EEEENSC_IJLi1ELi0ELi2EEEESE_Li2ELi8ELi8ELb0ELi0ENSC_IJLi4ELi32ELi1EEEESE_SE_Li2ELi32ELi32ELb0ELi0ELi1ELi1ENSC_IJLi1ELi16ELi1ELi8EEEELi4ELNS_26BlockGemmPipelineSchedulerE1ELNS_24BlockGemmPipelineVersionE1EttLb0ELb1ELb0ELi0ELb0EEELb1ELNS_25InMemoryDataOperationEnumE1ELi2ELNS_10TailNumberE2EEEvNT_8ArgumentE
    .private_segment_fixed_size: 0
    .sgpr_count:     0
    .sgpr_spill_count: 0
    .symbol:         _ZN2ck27kernel_gemm_xdl_cshuffle_v3INS_28GridwiseGemm_xdl_cshuffle_v3INS_13tensor_layout4gemm8RowMajorENS3_11ColumnMajorES4_tNS_7pk_i4_tEfttNS_16tensor_operation12element_wise11PassThroughES9_S9_LNS7_6device18GemmSpecializationE0ELi128ELi16ELi64ELi128ELi8ELi32ELi16ELi16ELi1ELi1ENS_8SequenceIJLi16ELi8ELi1EEEENSC_IJLi1ELi0ELi2EEEESE_Li2ELi8ELi8ELb0ELi0ENSC_IJLi4ELi32ELi1EEEESE_SE_Li2ELi32ELi32ELb0ELi0ELi1ELi1ENSC_IJLi1ELi16ELi1ELi8EEEELi4ELNS_26BlockGemmPipelineSchedulerE1ELNS_24BlockGemmPipelineVersionE1EttLb0ELb1ELb0ELi0ELb0EEELb1ELNS_25InMemoryDataOperationEnumE1ELi2ELNS_10TailNumberE2EEEvNT_8ArgumentE.kd
    .uniform_work_group_size: 1
    .uses_dynamic_stack: false
    .vgpr_count:     0
    .vgpr_spill_count: 0
    .wavefront_size: 32
    .workgroup_processor_mode: 1
  - .args:
      - .offset:         0
        .size:           112
        .value_kind:     by_value
    .group_segment_fixed_size: 0
    .kernarg_segment_align: 8
    .kernarg_segment_size: 112
    .language:       OpenCL C
    .language_version:
      - 2
      - 0
    .max_flat_workgroup_size: 128
    .name:           _ZN2ck27kernel_gemm_xdl_cshuffle_v3INS_28GridwiseGemm_xdl_cshuffle_v3INS_13tensor_layout4gemm8RowMajorENS3_11ColumnMajorES4_tNS_7pk_i4_tEfttNS_16tensor_operation12element_wise11PassThroughES9_S9_LNS7_6device18GemmSpecializationE0ELi128ELi16ELi64ELi128ELi8ELi32ELi16ELi16ELi1ELi1ENS_8SequenceIJLi16ELi8ELi1EEEENSC_IJLi1ELi0ELi2EEEESE_Li2ELi8ELi8ELb0ELi0ENSC_IJLi4ELi32ELi1EEEESE_SE_Li2ELi32ELi32ELb0ELi0ELi1ELi1ENSC_IJLi1ELi16ELi1ELi8EEEELi4ELNS_26BlockGemmPipelineSchedulerE1ELNS_24BlockGemmPipelineVersionE1EttLb0ELb1ELb0ELi0ELb0EEELb1ELNS_25InMemoryDataOperationEnumE1ELi2ELNS_10TailNumberE10EEEvNT_8ArgumentE
    .private_segment_fixed_size: 0
    .sgpr_count:     0
    .sgpr_spill_count: 0
    .symbol:         _ZN2ck27kernel_gemm_xdl_cshuffle_v3INS_28GridwiseGemm_xdl_cshuffle_v3INS_13tensor_layout4gemm8RowMajorENS3_11ColumnMajorES4_tNS_7pk_i4_tEfttNS_16tensor_operation12element_wise11PassThroughES9_S9_LNS7_6device18GemmSpecializationE0ELi128ELi16ELi64ELi128ELi8ELi32ELi16ELi16ELi1ELi1ENS_8SequenceIJLi16ELi8ELi1EEEENSC_IJLi1ELi0ELi2EEEESE_Li2ELi8ELi8ELb0ELi0ENSC_IJLi4ELi32ELi1EEEESE_SE_Li2ELi32ELi32ELb0ELi0ELi1ELi1ENSC_IJLi1ELi16ELi1ELi8EEEELi4ELNS_26BlockGemmPipelineSchedulerE1ELNS_24BlockGemmPipelineVersionE1EttLb0ELb1ELb0ELi0ELb0EEELb1ELNS_25InMemoryDataOperationEnumE1ELi2ELNS_10TailNumberE10EEEvNT_8ArgumentE.kd
    .uniform_work_group_size: 1
    .uses_dynamic_stack: false
    .vgpr_count:     0
    .vgpr_spill_count: 0
    .wavefront_size: 32
    .workgroup_processor_mode: 1
  - .args:
      - .offset:         0
        .size:           112
        .value_kind:     by_value
    .group_segment_fixed_size: 0
    .kernarg_segment_align: 8
    .kernarg_segment_size: 112
    .language:       OpenCL C
    .language_version:
      - 2
      - 0
    .max_flat_workgroup_size: 128
    .name:           _ZN2ck27kernel_gemm_xdl_cshuffle_v3INS_28GridwiseGemm_xdl_cshuffle_v3INS_13tensor_layout4gemm8RowMajorENS3_11ColumnMajorES4_tNS_7pk_i4_tEfttNS_16tensor_operation12element_wise11PassThroughES9_S9_LNS7_6device18GemmSpecializationE0ELi128ELi16ELi64ELi128ELi8ELi32ELi16ELi16ELi1ELi1ENS_8SequenceIJLi16ELi8ELi1EEEENSC_IJLi1ELi0ELi2EEEESE_Li2ELi8ELi8ELb0ELi0ENSC_IJLi4ELi32ELi1EEEESE_SE_Li2ELi32ELi32ELb0ELi0ELi1ELi1ENSC_IJLi1ELi16ELi1ELi8EEEELi4ELNS_26BlockGemmPipelineSchedulerE1ELNS_24BlockGemmPipelineVersionE1EttLb0ELb1ELb0ELi0ELb0EEELb1ELNS_25InMemoryDataOperationEnumE1ELi2ELNS_10TailNumberE3EEEvNT_8ArgumentE
    .private_segment_fixed_size: 0
    .sgpr_count:     0
    .sgpr_spill_count: 0
    .symbol:         _ZN2ck27kernel_gemm_xdl_cshuffle_v3INS_28GridwiseGemm_xdl_cshuffle_v3INS_13tensor_layout4gemm8RowMajorENS3_11ColumnMajorES4_tNS_7pk_i4_tEfttNS_16tensor_operation12element_wise11PassThroughES9_S9_LNS7_6device18GemmSpecializationE0ELi128ELi16ELi64ELi128ELi8ELi32ELi16ELi16ELi1ELi1ENS_8SequenceIJLi16ELi8ELi1EEEENSC_IJLi1ELi0ELi2EEEESE_Li2ELi8ELi8ELb0ELi0ENSC_IJLi4ELi32ELi1EEEESE_SE_Li2ELi32ELi32ELb0ELi0ELi1ELi1ENSC_IJLi1ELi16ELi1ELi8EEEELi4ELNS_26BlockGemmPipelineSchedulerE1ELNS_24BlockGemmPipelineVersionE1EttLb0ELb1ELb0ELi0ELb0EEELb1ELNS_25InMemoryDataOperationEnumE1ELi2ELNS_10TailNumberE3EEEvNT_8ArgumentE.kd
    .uniform_work_group_size: 1
    .uses_dynamic_stack: false
    .vgpr_count:     0
    .vgpr_spill_count: 0
    .wavefront_size: 32
    .workgroup_processor_mode: 1
  - .args:
      - .offset:         0
        .size:           112
        .value_kind:     by_value
    .group_segment_fixed_size: 8192
    .kernarg_segment_align: 8
    .kernarg_segment_size: 112
    .language:       OpenCL C
    .language_version:
      - 2
      - 0
    .max_flat_workgroup_size: 128
    .name:           _ZN2ck27kernel_gemm_xdl_cshuffle_v3INS_28GridwiseGemm_xdl_cshuffle_v3INS_13tensor_layout4gemm8RowMajorENS3_11ColumnMajorES4_tNS_7pk_i4_tEfttNS_16tensor_operation12element_wise11PassThroughES9_S9_LNS7_6device18GemmSpecializationE0ELi128ELi16ELi64ELi128ELi8ELi32ELi16ELi16ELi1ELi1ENS_8SequenceIJLi16ELi8ELi1EEEENSC_IJLi1ELi0ELi2EEEESE_Li2ELi8ELi8ELb0ELi0ENSC_IJLi4ELi32ELi1EEEESE_SE_Li2ELi32ELi32ELb0ELi0ELi1ELi1ENSC_IJLi1ELi16ELi1ELi8EEEELi4ELNS_26BlockGemmPipelineSchedulerE1ELNS_24BlockGemmPipelineVersionE1EttLb0ELb1ELb0ELi0ELb0EEELb1ELNS_25InMemoryDataOperationEnumE0ELi2ELNS_10TailNumberE2EEEvNT_8ArgumentE
    .private_segment_fixed_size: 260
    .sgpr_count:     31
    .sgpr_spill_count: 0
    .symbol:         _ZN2ck27kernel_gemm_xdl_cshuffle_v3INS_28GridwiseGemm_xdl_cshuffle_v3INS_13tensor_layout4gemm8RowMajorENS3_11ColumnMajorES4_tNS_7pk_i4_tEfttNS_16tensor_operation12element_wise11PassThroughES9_S9_LNS7_6device18GemmSpecializationE0ELi128ELi16ELi64ELi128ELi8ELi32ELi16ELi16ELi1ELi1ENS_8SequenceIJLi16ELi8ELi1EEEENSC_IJLi1ELi0ELi2EEEESE_Li2ELi8ELi8ELb0ELi0ENSC_IJLi4ELi32ELi1EEEESE_SE_Li2ELi32ELi32ELb0ELi0ELi1ELi1ENSC_IJLi1ELi16ELi1ELi8EEEELi4ELNS_26BlockGemmPipelineSchedulerE1ELNS_24BlockGemmPipelineVersionE1EttLb0ELb1ELb0ELi0ELb0EEELb1ELNS_25InMemoryDataOperationEnumE0ELi2ELNS_10TailNumberE2EEEvNT_8ArgumentE.kd
    .uniform_work_group_size: 1
    .uses_dynamic_stack: false
    .vgpr_count:     256
    .vgpr_spill_count: 65
    .wavefront_size: 32
    .workgroup_processor_mode: 1
  - .args:
      - .offset:         0
        .size:           112
        .value_kind:     by_value
    .group_segment_fixed_size: 8192
    .kernarg_segment_align: 8
    .kernarg_segment_size: 112
    .language:       OpenCL C
    .language_version:
      - 2
      - 0
    .max_flat_workgroup_size: 128
    .name:           _ZN2ck27kernel_gemm_xdl_cshuffle_v3INS_28GridwiseGemm_xdl_cshuffle_v3INS_13tensor_layout4gemm8RowMajorENS3_11ColumnMajorES4_tNS_7pk_i4_tEfttNS_16tensor_operation12element_wise11PassThroughES9_S9_LNS7_6device18GemmSpecializationE0ELi128ELi16ELi64ELi128ELi8ELi32ELi16ELi16ELi1ELi1ENS_8SequenceIJLi16ELi8ELi1EEEENSC_IJLi1ELi0ELi2EEEESE_Li2ELi8ELi8ELb0ELi0ENSC_IJLi4ELi32ELi1EEEESE_SE_Li2ELi32ELi32ELb0ELi0ELi1ELi1ENSC_IJLi1ELi16ELi1ELi8EEEELi4ELNS_26BlockGemmPipelineSchedulerE1ELNS_24BlockGemmPipelineVersionE1EttLb0ELb1ELb0ELi0ELb0EEELb1ELNS_25InMemoryDataOperationEnumE0ELi2ELNS_10TailNumberE10EEEvNT_8ArgumentE
    .private_segment_fixed_size: 248
    .sgpr_count:     31
    .sgpr_spill_count: 0
    .symbol:         _ZN2ck27kernel_gemm_xdl_cshuffle_v3INS_28GridwiseGemm_xdl_cshuffle_v3INS_13tensor_layout4gemm8RowMajorENS3_11ColumnMajorES4_tNS_7pk_i4_tEfttNS_16tensor_operation12element_wise11PassThroughES9_S9_LNS7_6device18GemmSpecializationE0ELi128ELi16ELi64ELi128ELi8ELi32ELi16ELi16ELi1ELi1ENS_8SequenceIJLi16ELi8ELi1EEEENSC_IJLi1ELi0ELi2EEEESE_Li2ELi8ELi8ELb0ELi0ENSC_IJLi4ELi32ELi1EEEESE_SE_Li2ELi32ELi32ELb0ELi0ELi1ELi1ENSC_IJLi1ELi16ELi1ELi8EEEELi4ELNS_26BlockGemmPipelineSchedulerE1ELNS_24BlockGemmPipelineVersionE1EttLb0ELb1ELb0ELi0ELb0EEELb1ELNS_25InMemoryDataOperationEnumE0ELi2ELNS_10TailNumberE10EEEvNT_8ArgumentE.kd
    .uniform_work_group_size: 1
    .uses_dynamic_stack: false
    .vgpr_count:     256
    .vgpr_spill_count: 65
    .wavefront_size: 32
    .workgroup_processor_mode: 1
  - .args:
      - .offset:         0
        .size:           112
        .value_kind:     by_value
    .group_segment_fixed_size: 8192
    .kernarg_segment_align: 8
    .kernarg_segment_size: 112
    .language:       OpenCL C
    .language_version:
      - 2
      - 0
    .max_flat_workgroup_size: 128
    .name:           _ZN2ck27kernel_gemm_xdl_cshuffle_v3INS_28GridwiseGemm_xdl_cshuffle_v3INS_13tensor_layout4gemm8RowMajorENS3_11ColumnMajorES4_tNS_7pk_i4_tEfttNS_16tensor_operation12element_wise11PassThroughES9_S9_LNS7_6device18GemmSpecializationE0ELi128ELi16ELi64ELi128ELi8ELi32ELi16ELi16ELi1ELi1ENS_8SequenceIJLi16ELi8ELi1EEEENSC_IJLi1ELi0ELi2EEEESE_Li2ELi8ELi8ELb0ELi0ENSC_IJLi4ELi32ELi1EEEESE_SE_Li2ELi32ELi32ELb0ELi0ELi1ELi1ENSC_IJLi1ELi16ELi1ELi8EEEELi4ELNS_26BlockGemmPipelineSchedulerE1ELNS_24BlockGemmPipelineVersionE1EttLb0ELb1ELb0ELi0ELb0EEELb1ELNS_25InMemoryDataOperationEnumE0ELi2ELNS_10TailNumberE3EEEvNT_8ArgumentE
    .private_segment_fixed_size: 256
    .sgpr_count:     31
    .sgpr_spill_count: 0
    .symbol:         _ZN2ck27kernel_gemm_xdl_cshuffle_v3INS_28GridwiseGemm_xdl_cshuffle_v3INS_13tensor_layout4gemm8RowMajorENS3_11ColumnMajorES4_tNS_7pk_i4_tEfttNS_16tensor_operation12element_wise11PassThroughES9_S9_LNS7_6device18GemmSpecializationE0ELi128ELi16ELi64ELi128ELi8ELi32ELi16ELi16ELi1ELi1ENS_8SequenceIJLi16ELi8ELi1EEEENSC_IJLi1ELi0ELi2EEEESE_Li2ELi8ELi8ELb0ELi0ENSC_IJLi4ELi32ELi1EEEESE_SE_Li2ELi32ELi32ELb0ELi0ELi1ELi1ENSC_IJLi1ELi16ELi1ELi8EEEELi4ELNS_26BlockGemmPipelineSchedulerE1ELNS_24BlockGemmPipelineVersionE1EttLb0ELb1ELb0ELi0ELb0EEELb1ELNS_25InMemoryDataOperationEnumE0ELi2ELNS_10TailNumberE3EEEvNT_8ArgumentE.kd
    .uniform_work_group_size: 1
    .uses_dynamic_stack: false
    .vgpr_count:     256
    .vgpr_spill_count: 67
    .wavefront_size: 32
    .workgroup_processor_mode: 1
amdhsa.target:   amdgcn-amd-amdhsa--gfx1100
amdhsa.version:
  - 1
  - 2
...

	.end_amdgpu_metadata
